;; amdgpu-corpus repo=llvm/llvm-project kind=harvested arch=n/a opt=n/a
// NOTE: Assertions have been autogenerated by utils/update_mc_test_checks.py UTC_ARGS: --version 5
// RUN: llvm-mc -triple=amdgcn -mcpu=gfx1250 -mattr=-real-true16 -show-encoding %s | FileCheck --check-prefix=GFX1250 %s

v_bfrev_b32_e64 v5, v1
// GFX1250: v_bfrev_b32_e64 v5, v1                  ; encoding: [0x05,0x00,0xb8,0xd5,0x01,0x01,0x01,0x02]

v_bfrev_b32_e64 v5, v255
// GFX1250: v_bfrev_b32_e64 v5, v255                ; encoding: [0x05,0x00,0xb8,0xd5,0xff,0x01,0x01,0x02]

v_bfrev_b32_e64 v5, s1
// GFX1250: v_bfrev_b32_e64 v5, s1                  ; encoding: [0x05,0x00,0xb8,0xd5,0x01,0x00,0x01,0x02]

v_bfrev_b32_e64 v5, s105
// GFX1250: v_bfrev_b32_e64 v5, s105                ; encoding: [0x05,0x00,0xb8,0xd5,0x69,0x00,0x01,0x02]

v_bfrev_b32_e64 v5, vcc_lo
// GFX1250: v_bfrev_b32_e64 v5, vcc_lo              ; encoding: [0x05,0x00,0xb8,0xd5,0x6a,0x00,0x01,0x02]

v_bfrev_b32_e64 v5, vcc_hi
// GFX1250: v_bfrev_b32_e64 v5, vcc_hi              ; encoding: [0x05,0x00,0xb8,0xd5,0x6b,0x00,0x01,0x02]

v_bfrev_b32_e64 v5, ttmp15
// GFX1250: v_bfrev_b32_e64 v5, ttmp15              ; encoding: [0x05,0x00,0xb8,0xd5,0x7b,0x00,0x01,0x02]

v_bfrev_b32_e64 v5, m0
// GFX1250: v_bfrev_b32_e64 v5, m0                  ; encoding: [0x05,0x00,0xb8,0xd5,0x7d,0x00,0x01,0x02]

v_bfrev_b32_e64 v5, exec_lo
// GFX1250: v_bfrev_b32_e64 v5, exec_lo             ; encoding: [0x05,0x00,0xb8,0xd5,0x7e,0x00,0x01,0x02]

v_bfrev_b32_e64 v5, exec_hi
// GFX1250: v_bfrev_b32_e64 v5, exec_hi             ; encoding: [0x05,0x00,0xb8,0xd5,0x7f,0x00,0x01,0x02]

v_bfrev_b32_e64 v5, null
// GFX1250: v_bfrev_b32_e64 v5, null                ; encoding: [0x05,0x00,0xb8,0xd5,0x7c,0x00,0x01,0x02]

v_bfrev_b32_e64 v5, -1
// GFX1250: v_bfrev_b32_e64 v5, -1                  ; encoding: [0x05,0x00,0xb8,0xd5,0xc1,0x00,0x01,0x02]

v_bfrev_b32_e64 v5, 0.5
// GFX1250: v_bfrev_b32_e64 v5, 0.5                 ; encoding: [0x05,0x00,0xb8,0xd5,0xf0,0x00,0x01,0x02]

v_bfrev_b32_e64 v5, src_scc
// GFX1250: v_bfrev_b32_e64 v5, src_scc             ; encoding: [0x05,0x00,0xb8,0xd5,0xfd,0x00,0x01,0x02]

v_bfrev_b32_e64 v255, 0xaf123456
// GFX1250: v_bfrev_b32_e64 v255, 0xaf123456        ; encoding: [0xff,0x00,0xb8,0xd5,0xff,0x00,0x01,0x02,0x56,0x34,0x12,0xaf]

v_ceil_f16_e64 v5, v1
// GFX1250: v_ceil_f16_e64 v5, v1                   ; encoding: [0x05,0x00,0xdc,0xd5,0x01,0x01,0x01,0x02]

v_ceil_f16_e64 v5, v255
// GFX1250: v_ceil_f16_e64 v5, v255                 ; encoding: [0x05,0x00,0xdc,0xd5,0xff,0x01,0x01,0x02]

v_ceil_f16_e64 v5, s1
// GFX1250: v_ceil_f16_e64 v5, s1                   ; encoding: [0x05,0x00,0xdc,0xd5,0x01,0x00,0x01,0x02]

v_ceil_f16_e64 v5, s105
// GFX1250: v_ceil_f16_e64 v5, s105                 ; encoding: [0x05,0x00,0xdc,0xd5,0x69,0x00,0x01,0x02]

v_ceil_f16_e64 v5, vcc_lo
// GFX1250: v_ceil_f16_e64 v5, vcc_lo               ; encoding: [0x05,0x00,0xdc,0xd5,0x6a,0x00,0x01,0x02]

v_ceil_f16_e64 v5, vcc_hi
// GFX1250: v_ceil_f16_e64 v5, vcc_hi               ; encoding: [0x05,0x00,0xdc,0xd5,0x6b,0x00,0x01,0x02]

v_ceil_f16_e64 v5, ttmp15
// GFX1250: v_ceil_f16_e64 v5, ttmp15               ; encoding: [0x05,0x00,0xdc,0xd5,0x7b,0x00,0x01,0x02]

v_ceil_f16_e64 v5, m0
// GFX1250: v_ceil_f16_e64 v5, m0                   ; encoding: [0x05,0x00,0xdc,0xd5,0x7d,0x00,0x01,0x02]

v_ceil_f16_e64 v5, exec_lo
// GFX1250: v_ceil_f16_e64 v5, exec_lo              ; encoding: [0x05,0x00,0xdc,0xd5,0x7e,0x00,0x01,0x02]

v_ceil_f16_e64 v5, exec_hi
// GFX1250: v_ceil_f16_e64 v5, exec_hi              ; encoding: [0x05,0x00,0xdc,0xd5,0x7f,0x00,0x01,0x02]

v_ceil_f16_e64 v5, null
// GFX1250: v_ceil_f16_e64 v5, null                 ; encoding: [0x05,0x00,0xdc,0xd5,0x7c,0x00,0x01,0x02]

v_ceil_f16_e64 v5, -1
// GFX1250: v_ceil_f16_e64 v5, -1                   ; encoding: [0x05,0x00,0xdc,0xd5,0xc1,0x00,0x01,0x02]

v_ceil_f16_e64 v5, 0.5 mul:2
// GFX1250: v_ceil_f16_e64 v5, 0.5 mul:2            ; encoding: [0x05,0x00,0xdc,0xd5,0xf0,0x00,0x01,0x0a]

v_ceil_f16_e64 v5, src_scc mul:4
// GFX1250: v_ceil_f16_e64 v5, src_scc mul:4        ; encoding: [0x05,0x00,0xdc,0xd5,0xfd,0x00,0x01,0x12]

v_ceil_f16_e64 v255, -|0xfe0b| clamp div:2
// GFX1250: v_ceil_f16_e64 v255, -|0xfe0b| clamp div:2 ; encoding: [0xff,0x81,0xdc,0xd5,0xff,0x00,0x01,0x3a,0x0b,0xfe,0x00,0x00]

v_ceil_f32_e64 v5, v1
// GFX1250: v_ceil_f32_e64 v5, v1                   ; encoding: [0x05,0x00,0xa2,0xd5,0x01,0x01,0x01,0x02]

v_ceil_f32_e64 v5, v255
// GFX1250: v_ceil_f32_e64 v5, v255                 ; encoding: [0x05,0x00,0xa2,0xd5,0xff,0x01,0x01,0x02]

v_ceil_f32_e64 v5, s1
// GFX1250: v_ceil_f32_e64 v5, s1                   ; encoding: [0x05,0x00,0xa2,0xd5,0x01,0x00,0x01,0x02]

v_ceil_f32_e64 v5, s105
// GFX1250: v_ceil_f32_e64 v5, s105                 ; encoding: [0x05,0x00,0xa2,0xd5,0x69,0x00,0x01,0x02]

v_ceil_f32_e64 v5, vcc_lo
// GFX1250: v_ceil_f32_e64 v5, vcc_lo               ; encoding: [0x05,0x00,0xa2,0xd5,0x6a,0x00,0x01,0x02]

v_ceil_f32_e64 v5, vcc_hi
// GFX1250: v_ceil_f32_e64 v5, vcc_hi               ; encoding: [0x05,0x00,0xa2,0xd5,0x6b,0x00,0x01,0x02]

v_ceil_f32_e64 v5, ttmp15
// GFX1250: v_ceil_f32_e64 v5, ttmp15               ; encoding: [0x05,0x00,0xa2,0xd5,0x7b,0x00,0x01,0x02]

v_ceil_f32_e64 v5, m0
// GFX1250: v_ceil_f32_e64 v5, m0                   ; encoding: [0x05,0x00,0xa2,0xd5,0x7d,0x00,0x01,0x02]

v_ceil_f32_e64 v5, exec_lo
// GFX1250: v_ceil_f32_e64 v5, exec_lo              ; encoding: [0x05,0x00,0xa2,0xd5,0x7e,0x00,0x01,0x02]

v_ceil_f32_e64 v5, exec_hi
// GFX1250: v_ceil_f32_e64 v5, exec_hi              ; encoding: [0x05,0x00,0xa2,0xd5,0x7f,0x00,0x01,0x02]

v_ceil_f32_e64 v5, null
// GFX1250: v_ceil_f32_e64 v5, null                 ; encoding: [0x05,0x00,0xa2,0xd5,0x7c,0x00,0x01,0x02]

v_ceil_f32_e64 v5, -1
// GFX1250: v_ceil_f32_e64 v5, -1                   ; encoding: [0x05,0x00,0xa2,0xd5,0xc1,0x00,0x01,0x02]

v_ceil_f32_e64 v5, 0.5 mul:2
// GFX1250: v_ceil_f32_e64 v5, 0.5 mul:2            ; encoding: [0x05,0x00,0xa2,0xd5,0xf0,0x00,0x01,0x0a]

v_ceil_f32_e64 v5, src_scc mul:4
// GFX1250: v_ceil_f32_e64 v5, src_scc mul:4        ; encoding: [0x05,0x00,0xa2,0xd5,0xfd,0x00,0x01,0x12]

v_ceil_f32_e64 v255, -|0xaf123456| clamp div:2
// GFX1250: v_ceil_f32_e64 v255, -|0xaf123456| clamp div:2 ; encoding: [0xff,0x81,0xa2,0xd5,0xff,0x00,0x01,0x3a,0x56,0x34,0x12,0xaf]

v_ceil_f64_e64 v[6:7], v[2:3]
// GFX1250: v_ceil_f64_e64 v[6:7], v[2:3]           ; encoding: [0x06,0x00,0x98,0xd5,0x02,0x01,0x01,0x02]

v_ceil_f64_e64 v[6:7], v[254:255]
// GFX1250: v_ceil_f64_e64 v[6:7], v[254:255]       ; encoding: [0x06,0x00,0x98,0xd5,0xfe,0x01,0x01,0x02]

v_ceil_f64_e64 v[6:7], s[2:3]
// GFX1250: v_ceil_f64_e64 v[6:7], s[2:3]           ; encoding: [0x06,0x00,0x98,0xd5,0x02,0x00,0x01,0x02]

v_ceil_f64_e64 v[6:7], s[104:105]
// GFX1250: v_ceil_f64_e64 v[6:7], s[104:105]       ; encoding: [0x06,0x00,0x98,0xd5,0x68,0x00,0x01,0x02]

v_ceil_f64_e64 v[6:7], vcc
// GFX1250: v_ceil_f64_e64 v[6:7], vcc              ; encoding: [0x06,0x00,0x98,0xd5,0x6a,0x00,0x01,0x02]

v_ceil_f64_e64 v[6:7], ttmp[14:15]
// GFX1250: v_ceil_f64_e64 v[6:7], ttmp[14:15]      ; encoding: [0x06,0x00,0x98,0xd5,0x7a,0x00,0x01,0x02]

v_ceil_f64_e64 v[6:7], exec
// GFX1250: v_ceil_f64_e64 v[6:7], exec             ; encoding: [0x06,0x00,0x98,0xd5,0x7e,0x00,0x01,0x02]

v_ceil_f64_e64 v[6:7], null
// GFX1250: v_ceil_f64_e64 v[6:7], null             ; encoding: [0x06,0x00,0x98,0xd5,0x7c,0x00,0x01,0x02]

v_ceil_f64_e64 v[6:7], -1
// GFX1250: v_ceil_f64_e64 v[6:7], -1               ; encoding: [0x06,0x00,0x98,0xd5,0xc1,0x00,0x01,0x02]

v_ceil_f64_e64 v[6:7], 0.5 mul:2
// GFX1250: v_ceil_f64_e64 v[6:7], 0.5 mul:2        ; encoding: [0x06,0x00,0x98,0xd5,0xf0,0x00,0x01,0x0a]

v_ceil_f64_e64 v[6:7], -|src_scc| mul:4
// GFX1250: v_ceil_f64_e64 v[6:7], -|src_scc| mul:4 ; encoding: [0x06,0x01,0x98,0xd5,0xfd,0x00,0x01,0x32]

v_ceil_f64_e64 v[254:255], 0xaf123456 clamp div:2
// GFX1250: v_ceil_f64_e64 v[254:255], 0xaf123456 clamp div:2 ; encoding: [0xfe,0x80,0x98,0xd5,0xff,0x00,0x01,0x1a,0x56,0x34,0x12,0xaf]

v_cls_i32_e64 v5, v1
// GFX1250: v_cls_i32_e64 v5, v1                    ; encoding: [0x05,0x00,0xbb,0xd5,0x01,0x01,0x01,0x02]

v_cls_i32_e64 v5, v255
// GFX1250: v_cls_i32_e64 v5, v255                  ; encoding: [0x05,0x00,0xbb,0xd5,0xff,0x01,0x01,0x02]

v_cls_i32_e64 v5, s1
// GFX1250: v_cls_i32_e64 v5, s1                    ; encoding: [0x05,0x00,0xbb,0xd5,0x01,0x00,0x01,0x02]

v_cls_i32_e64 v5, s105
// GFX1250: v_cls_i32_e64 v5, s105                  ; encoding: [0x05,0x00,0xbb,0xd5,0x69,0x00,0x01,0x02]

v_cls_i32_e64 v5, vcc_lo
// GFX1250: v_cls_i32_e64 v5, vcc_lo                ; encoding: [0x05,0x00,0xbb,0xd5,0x6a,0x00,0x01,0x02]

v_cls_i32_e64 v5, vcc_hi
// GFX1250: v_cls_i32_e64 v5, vcc_hi                ; encoding: [0x05,0x00,0xbb,0xd5,0x6b,0x00,0x01,0x02]

v_cls_i32_e64 v5, ttmp15
// GFX1250: v_cls_i32_e64 v5, ttmp15                ; encoding: [0x05,0x00,0xbb,0xd5,0x7b,0x00,0x01,0x02]

v_cls_i32_e64 v5, m0
// GFX1250: v_cls_i32_e64 v5, m0                    ; encoding: [0x05,0x00,0xbb,0xd5,0x7d,0x00,0x01,0x02]

v_cls_i32_e64 v5, exec_lo
// GFX1250: v_cls_i32_e64 v5, exec_lo               ; encoding: [0x05,0x00,0xbb,0xd5,0x7e,0x00,0x01,0x02]

v_cls_i32_e64 v5, exec_hi
// GFX1250: v_cls_i32_e64 v5, exec_hi               ; encoding: [0x05,0x00,0xbb,0xd5,0x7f,0x00,0x01,0x02]

v_cls_i32_e64 v5, null
// GFX1250: v_cls_i32_e64 v5, null                  ; encoding: [0x05,0x00,0xbb,0xd5,0x7c,0x00,0x01,0x02]

v_cls_i32_e64 v5, -1
// GFX1250: v_cls_i32_e64 v5, -1                    ; encoding: [0x05,0x00,0xbb,0xd5,0xc1,0x00,0x01,0x02]

v_cls_i32_e64 v5, 0.5
// GFX1250: v_cls_i32_e64 v5, 0.5                   ; encoding: [0x05,0x00,0xbb,0xd5,0xf0,0x00,0x01,0x02]

v_cls_i32_e64 v5, src_scc
// GFX1250: v_cls_i32_e64 v5, src_scc               ; encoding: [0x05,0x00,0xbb,0xd5,0xfd,0x00,0x01,0x02]

v_cls_i32_e64 v255, 0xaf123456
// GFX1250: v_cls_i32_e64 v255, 0xaf123456          ; encoding: [0xff,0x00,0xbb,0xd5,0xff,0x00,0x01,0x02,0x56,0x34,0x12,0xaf]

v_clz_i32_u32_e64 v5, v1
// GFX1250: v_clz_i32_u32_e64 v5, v1                ; encoding: [0x05,0x00,0xb9,0xd5,0x01,0x01,0x01,0x02]

v_clz_i32_u32_e64 v5, v255
// GFX1250: v_clz_i32_u32_e64 v5, v255              ; encoding: [0x05,0x00,0xb9,0xd5,0xff,0x01,0x01,0x02]

v_clz_i32_u32_e64 v5, s1
// GFX1250: v_clz_i32_u32_e64 v5, s1                ; encoding: [0x05,0x00,0xb9,0xd5,0x01,0x00,0x01,0x02]

v_clz_i32_u32_e64 v5, s105
// GFX1250: v_clz_i32_u32_e64 v5, s105              ; encoding: [0x05,0x00,0xb9,0xd5,0x69,0x00,0x01,0x02]

v_clz_i32_u32_e64 v5, vcc_lo
// GFX1250: v_clz_i32_u32_e64 v5, vcc_lo            ; encoding: [0x05,0x00,0xb9,0xd5,0x6a,0x00,0x01,0x02]

v_clz_i32_u32_e64 v5, vcc_hi
// GFX1250: v_clz_i32_u32_e64 v5, vcc_hi            ; encoding: [0x05,0x00,0xb9,0xd5,0x6b,0x00,0x01,0x02]

v_clz_i32_u32_e64 v5, ttmp15
// GFX1250: v_clz_i32_u32_e64 v5, ttmp15            ; encoding: [0x05,0x00,0xb9,0xd5,0x7b,0x00,0x01,0x02]

v_clz_i32_u32_e64 v5, m0
// GFX1250: v_clz_i32_u32_e64 v5, m0                ; encoding: [0x05,0x00,0xb9,0xd5,0x7d,0x00,0x01,0x02]

v_clz_i32_u32_e64 v5, exec_lo
// GFX1250: v_clz_i32_u32_e64 v5, exec_lo           ; encoding: [0x05,0x00,0xb9,0xd5,0x7e,0x00,0x01,0x02]

v_clz_i32_u32_e64 v5, exec_hi
// GFX1250: v_clz_i32_u32_e64 v5, exec_hi           ; encoding: [0x05,0x00,0xb9,0xd5,0x7f,0x00,0x01,0x02]

v_clz_i32_u32_e64 v5, null
// GFX1250: v_clz_i32_u32_e64 v5, null              ; encoding: [0x05,0x00,0xb9,0xd5,0x7c,0x00,0x01,0x02]

v_clz_i32_u32_e64 v5, -1
// GFX1250: v_clz_i32_u32_e64 v5, -1                ; encoding: [0x05,0x00,0xb9,0xd5,0xc1,0x00,0x01,0x02]

v_clz_i32_u32_e64 v5, 0.5
// GFX1250: v_clz_i32_u32_e64 v5, 0.5               ; encoding: [0x05,0x00,0xb9,0xd5,0xf0,0x00,0x01,0x02]

v_clz_i32_u32_e64 v5, src_scc
// GFX1250: v_clz_i32_u32_e64 v5, src_scc           ; encoding: [0x05,0x00,0xb9,0xd5,0xfd,0x00,0x01,0x02]

v_clz_i32_u32_e64 v255, 0xaf123456
// GFX1250: v_clz_i32_u32_e64 v255, 0xaf123456      ; encoding: [0xff,0x00,0xb9,0xd5,0xff,0x00,0x01,0x02,0x56,0x34,0x12,0xaf]

v_cos_f16_e64 v5, v1
// GFX1250: v_cos_f16_e64 v5, v1                    ; encoding: [0x05,0x00,0xe1,0xd5,0x01,0x01,0x01,0x02]

v_cos_f16_e64 v5, v255
// GFX1250: v_cos_f16_e64 v5, v255                  ; encoding: [0x05,0x00,0xe1,0xd5,0xff,0x01,0x01,0x02]

v_cos_f16_e64 v5, s1
// GFX1250: v_cos_f16_e64 v5, s1                    ; encoding: [0x05,0x00,0xe1,0xd5,0x01,0x00,0x01,0x02]

v_cos_f16_e64 v5, s105
// GFX1250: v_cos_f16_e64 v5, s105                  ; encoding: [0x05,0x00,0xe1,0xd5,0x69,0x00,0x01,0x02]

v_cos_f16_e64 v5, vcc_lo
// GFX1250: v_cos_f16_e64 v5, vcc_lo                ; encoding: [0x05,0x00,0xe1,0xd5,0x6a,0x00,0x01,0x02]

v_cos_f16_e64 v5, vcc_hi
// GFX1250: v_cos_f16_e64 v5, vcc_hi                ; encoding: [0x05,0x00,0xe1,0xd5,0x6b,0x00,0x01,0x02]

v_cos_f16_e64 v5, ttmp15
// GFX1250: v_cos_f16_e64 v5, ttmp15                ; encoding: [0x05,0x00,0xe1,0xd5,0x7b,0x00,0x01,0x02]

v_cos_f16_e64 v5, m0
// GFX1250: v_cos_f16_e64 v5, m0                    ; encoding: [0x05,0x00,0xe1,0xd5,0x7d,0x00,0x01,0x02]

v_cos_f16_e64 v5, exec_lo
// GFX1250: v_cos_f16_e64 v5, exec_lo               ; encoding: [0x05,0x00,0xe1,0xd5,0x7e,0x00,0x01,0x02]

v_cos_f16_e64 v5, exec_hi
// GFX1250: v_cos_f16_e64 v5, exec_hi               ; encoding: [0x05,0x00,0xe1,0xd5,0x7f,0x00,0x01,0x02]

v_cos_f16_e64 v5, null
// GFX1250: v_cos_f16_e64 v5, null                  ; encoding: [0x05,0x00,0xe1,0xd5,0x7c,0x00,0x01,0x02]

v_cos_f16_e64 v5, -1
// GFX1250: v_cos_f16_e64 v5, -1                    ; encoding: [0x05,0x00,0xe1,0xd5,0xc1,0x00,0x01,0x02]

v_cos_f16_e64 v5, 0.5 mul:2
// GFX1250: v_cos_f16_e64 v5, 0.5 mul:2             ; encoding: [0x05,0x00,0xe1,0xd5,0xf0,0x00,0x01,0x0a]

v_cos_f16_e64 v5, src_scc mul:4
// GFX1250: v_cos_f16_e64 v5, src_scc mul:4         ; encoding: [0x05,0x00,0xe1,0xd5,0xfd,0x00,0x01,0x12]

v_cos_f16_e64 v255, -|0xfe0b| clamp div:2
// GFX1250: v_cos_f16_e64 v255, -|0xfe0b| clamp div:2 ; encoding: [0xff,0x81,0xe1,0xd5,0xff,0x00,0x01,0x3a,0x0b,0xfe,0x00,0x00]

v_cos_f32_e64 v5, v1
// GFX1250: v_cos_f32_e64 v5, v1                    ; encoding: [0x05,0x00,0xb6,0xd5,0x01,0x01,0x01,0x02]

v_cos_f32_e64 v5, v255
// GFX1250: v_cos_f32_e64 v5, v255                  ; encoding: [0x05,0x00,0xb6,0xd5,0xff,0x01,0x01,0x02]

v_cos_f32_e64 v5, s1
// GFX1250: v_cos_f32_e64 v5, s1                    ; encoding: [0x05,0x00,0xb6,0xd5,0x01,0x00,0x01,0x02]

v_cos_f32_e64 v5, s105
// GFX1250: v_cos_f32_e64 v5, s105                  ; encoding: [0x05,0x00,0xb6,0xd5,0x69,0x00,0x01,0x02]

v_cos_f32_e64 v5, vcc_lo
// GFX1250: v_cos_f32_e64 v5, vcc_lo                ; encoding: [0x05,0x00,0xb6,0xd5,0x6a,0x00,0x01,0x02]

v_cos_f32_e64 v5, vcc_hi
// GFX1250: v_cos_f32_e64 v5, vcc_hi                ; encoding: [0x05,0x00,0xb6,0xd5,0x6b,0x00,0x01,0x02]

v_cos_f32_e64 v5, ttmp15
// GFX1250: v_cos_f32_e64 v5, ttmp15                ; encoding: [0x05,0x00,0xb6,0xd5,0x7b,0x00,0x01,0x02]

v_cos_f32_e64 v5, m0
// GFX1250: v_cos_f32_e64 v5, m0                    ; encoding: [0x05,0x00,0xb6,0xd5,0x7d,0x00,0x01,0x02]

v_cos_f32_e64 v5, exec_lo
// GFX1250: v_cos_f32_e64 v5, exec_lo               ; encoding: [0x05,0x00,0xb6,0xd5,0x7e,0x00,0x01,0x02]

v_cos_f32_e64 v5, exec_hi
// GFX1250: v_cos_f32_e64 v5, exec_hi               ; encoding: [0x05,0x00,0xb6,0xd5,0x7f,0x00,0x01,0x02]

v_cos_f32_e64 v5, null
// GFX1250: v_cos_f32_e64 v5, null                  ; encoding: [0x05,0x00,0xb6,0xd5,0x7c,0x00,0x01,0x02]

v_cos_f32_e64 v5, -1
// GFX1250: v_cos_f32_e64 v5, -1                    ; encoding: [0x05,0x00,0xb6,0xd5,0xc1,0x00,0x01,0x02]

v_cos_f32_e64 v5, 0.5 mul:2
// GFX1250: v_cos_f32_e64 v5, 0.5 mul:2             ; encoding: [0x05,0x00,0xb6,0xd5,0xf0,0x00,0x01,0x0a]

v_cos_f32_e64 v5, src_scc mul:4
// GFX1250: v_cos_f32_e64 v5, src_scc mul:4         ; encoding: [0x05,0x00,0xb6,0xd5,0xfd,0x00,0x01,0x12]

v_cos_f32_e64 v255, -|0xaf123456| clamp div:2
// GFX1250: v_cos_f32_e64 v255, -|0xaf123456| clamp div:2 ; encoding: [0xff,0x81,0xb6,0xd5,0xff,0x00,0x01,0x3a,0x56,0x34,0x12,0xaf]

v_ctz_i32_b32_e64 v5, v1
// GFX1250: v_ctz_i32_b32_e64 v5, v1                ; encoding: [0x05,0x00,0xba,0xd5,0x01,0x01,0x01,0x02]

v_ctz_i32_b32_e64 v5, v255
// GFX1250: v_ctz_i32_b32_e64 v5, v255              ; encoding: [0x05,0x00,0xba,0xd5,0xff,0x01,0x01,0x02]

v_ctz_i32_b32_e64 v5, s1
// GFX1250: v_ctz_i32_b32_e64 v5, s1                ; encoding: [0x05,0x00,0xba,0xd5,0x01,0x00,0x01,0x02]

v_ctz_i32_b32_e64 v5, s105
// GFX1250: v_ctz_i32_b32_e64 v5, s105              ; encoding: [0x05,0x00,0xba,0xd5,0x69,0x00,0x01,0x02]

v_ctz_i32_b32_e64 v5, vcc_lo
// GFX1250: v_ctz_i32_b32_e64 v5, vcc_lo            ; encoding: [0x05,0x00,0xba,0xd5,0x6a,0x00,0x01,0x02]

v_ctz_i32_b32_e64 v5, vcc_hi
// GFX1250: v_ctz_i32_b32_e64 v5, vcc_hi            ; encoding: [0x05,0x00,0xba,0xd5,0x6b,0x00,0x01,0x02]

v_ctz_i32_b32_e64 v5, ttmp15
// GFX1250: v_ctz_i32_b32_e64 v5, ttmp15            ; encoding: [0x05,0x00,0xba,0xd5,0x7b,0x00,0x01,0x02]

v_ctz_i32_b32_e64 v5, m0
// GFX1250: v_ctz_i32_b32_e64 v5, m0                ; encoding: [0x05,0x00,0xba,0xd5,0x7d,0x00,0x01,0x02]

v_ctz_i32_b32_e64 v5, exec_lo
// GFX1250: v_ctz_i32_b32_e64 v5, exec_lo           ; encoding: [0x05,0x00,0xba,0xd5,0x7e,0x00,0x01,0x02]

v_ctz_i32_b32_e64 v5, exec_hi
// GFX1250: v_ctz_i32_b32_e64 v5, exec_hi           ; encoding: [0x05,0x00,0xba,0xd5,0x7f,0x00,0x01,0x02]

v_ctz_i32_b32_e64 v5, null
// GFX1250: v_ctz_i32_b32_e64 v5, null              ; encoding: [0x05,0x00,0xba,0xd5,0x7c,0x00,0x01,0x02]

v_ctz_i32_b32_e64 v5, -1
// GFX1250: v_ctz_i32_b32_e64 v5, -1                ; encoding: [0x05,0x00,0xba,0xd5,0xc1,0x00,0x01,0x02]

v_ctz_i32_b32_e64 v5, 0.5
// GFX1250: v_ctz_i32_b32_e64 v5, 0.5               ; encoding: [0x05,0x00,0xba,0xd5,0xf0,0x00,0x01,0x02]

v_ctz_i32_b32_e64 v5, src_scc
// GFX1250: v_ctz_i32_b32_e64 v5, src_scc           ; encoding: [0x05,0x00,0xba,0xd5,0xfd,0x00,0x01,0x02]

v_ctz_i32_b32_e64 v255, 0xaf123456
// GFX1250: v_ctz_i32_b32_e64 v255, 0xaf123456      ; encoding: [0xff,0x00,0xba,0xd5,0xff,0x00,0x01,0x02,0x56,0x34,0x12,0xaf]

v_cvt_f32_bf8_e64 v1, s3
// GFX1250: v_cvt_f32_bf8_e64 v1, s3                ; encoding: [0x01,0x00,0xed,0xd5,0x03,0x00,0x01,0x02]

v_cvt_f32_bf8_e64 v1, s3 byte_sel:1
// GFX1250: v_cvt_f32_bf8_e64 v1, s3 byte_sel:1     ; encoding: [0x01,0x10,0xed,0xd5,0x03,0x00,0x01,0x02]

v_cvt_f32_bf8_e64 v1, s3 byte_sel:2
// GFX1250: v_cvt_f32_bf8_e64 v1, s3 byte_sel:2     ; encoding: [0x01,0x08,0xed,0xd5,0x03,0x00,0x01,0x02]
	;; [unrolled: 3-line block ×3, first 2 shown]

v_cvt_f32_bf8_e64 v1, 3
// GFX1250: v_cvt_f32_bf8_e64 v1, 3                 ; encoding: [0x01,0x00,0xed,0xd5,0x83,0x00,0x01,0x02]

v_cvt_f32_bf8_e64 v1, 3 byte_sel:1
// GFX1250: v_cvt_f32_bf8_e64 v1, 3 byte_sel:1      ; encoding: [0x01,0x10,0xed,0xd5,0x83,0x00,0x01,0x02]

v_cvt_f32_bf8_e64 v1, 3 byte_sel:2
// GFX1250: v_cvt_f32_bf8_e64 v1, 3 byte_sel:2      ; encoding: [0x01,0x08,0xed,0xd5,0x83,0x00,0x01,0x02]
	;; [unrolled: 3-line block ×3, first 2 shown]

v_cvt_f32_bf8_e64 v1, v3
// GFX1250: v_cvt_f32_bf8_e64 v1, v3                ; encoding: [0x01,0x00,0xed,0xd5,0x03,0x01,0x01,0x02]

v_cvt_f32_bf8_e64 v1, v3 byte_sel:1
// GFX1250: v_cvt_f32_bf8_e64 v1, v3 byte_sel:1     ; encoding: [0x01,0x10,0xed,0xd5,0x03,0x01,0x01,0x02]

v_cvt_f32_bf8_e64 v1, v3 byte_sel:2
// GFX1250: v_cvt_f32_bf8_e64 v1, v3 byte_sel:2     ; encoding: [0x01,0x08,0xed,0xd5,0x03,0x01,0x01,0x02]
	;; [unrolled: 3-line block ×3, first 2 shown]

v_cvt_f32_fp8_e64 v1, s3
// GFX1250: v_cvt_f32_fp8_e64 v1, s3                ; encoding: [0x01,0x00,0xec,0xd5,0x03,0x00,0x01,0x02]

v_cvt_f32_fp8_e64 v1, s3 byte_sel:1
// GFX1250: v_cvt_f32_fp8_e64 v1, s3 byte_sel:1     ; encoding: [0x01,0x10,0xec,0xd5,0x03,0x00,0x01,0x02]

v_cvt_f32_fp8_e64 v1, s3 byte_sel:2
// GFX1250: v_cvt_f32_fp8_e64 v1, s3 byte_sel:2     ; encoding: [0x01,0x08,0xec,0xd5,0x03,0x00,0x01,0x02]
	;; [unrolled: 3-line block ×3, first 2 shown]

v_cvt_f32_fp8_e64 v1, 3
// GFX1250: v_cvt_f32_fp8_e64 v1, 3                 ; encoding: [0x01,0x00,0xec,0xd5,0x83,0x00,0x01,0x02]

v_cvt_f32_fp8_e64 v1, 3 byte_sel:1
// GFX1250: v_cvt_f32_fp8_e64 v1, 3 byte_sel:1      ; encoding: [0x01,0x10,0xec,0xd5,0x83,0x00,0x01,0x02]

v_cvt_f32_fp8_e64 v1, 3 byte_sel:2
// GFX1250: v_cvt_f32_fp8_e64 v1, 3 byte_sel:2      ; encoding: [0x01,0x08,0xec,0xd5,0x83,0x00,0x01,0x02]
	;; [unrolled: 3-line block ×3, first 2 shown]

v_cvt_f32_fp8_e64 v1, v3
// GFX1250: v_cvt_f32_fp8_e64 v1, v3                ; encoding: [0x01,0x00,0xec,0xd5,0x03,0x01,0x01,0x02]

v_cvt_f32_fp8_e64 v1, v3 byte_sel:1
// GFX1250: v_cvt_f32_fp8_e64 v1, v3 byte_sel:1     ; encoding: [0x01,0x10,0xec,0xd5,0x03,0x01,0x01,0x02]

v_cvt_f32_fp8_e64 v1, v3 byte_sel:2
// GFX1250: v_cvt_f32_fp8_e64 v1, v3 byte_sel:2     ; encoding: [0x01,0x08,0xec,0xd5,0x03,0x01,0x01,0x02]
	;; [unrolled: 3-line block ×3, first 2 shown]

v_cvt_f32_fp8_e64 v1, v3 clamp          ; encoding: [0x01,0x80,0xec,0xd5,0x03,0x01,0x00,0x00]
// GFX1250: v_cvt_f32_fp8_e64 v1, v3 clamp          ; encoding: [0x01,0x80,0xec,0xd5,0x03,0x01,0x01,0x02]

v_cvt_f32_fp8 v1, v3 byte_sel:1 clamp
// GFX1250: v_cvt_f32_fp8_e64 v1, v3 byte_sel:1 clamp ; encoding: [0x01,0x90,0xec,0xd5,0x03,0x01,0x01,0x02]

v_cvt_f32_fp8 v1, v3 byte_sel:2 clamp
// GFX1250: v_cvt_f32_fp8_e64 v1, v3 byte_sel:2 clamp ; encoding: [0x01,0x88,0xec,0xd5,0x03,0x01,0x01,0x02]

v_cvt_pk_f32_bf8_e64 v[2:3], s3
// GFX1250: v_cvt_pk_f32_bf8_e64 v[2:3], s3         ; encoding: [0x02,0x00,0xef,0xd5,0x03,0x00,0x01,0x02]

v_cvt_pk_f32_bf8_e64 v[2:3], s3 op_sel:[1,0]
// GFX1250: v_cvt_pk_f32_bf8_e64 v[2:3], s3 op_sel:[1,0] ; encoding: [0x02,0x08,0xef,0xd5,0x03,0x00,0x01,0x02]

v_cvt_pk_f32_bf8_e64 v[2:3], 3
// GFX1250: v_cvt_pk_f32_bf8_e64 v[2:3], 3          ; encoding: [0x02,0x00,0xef,0xd5,0x83,0x00,0x01,0x02]

v_cvt_pk_f32_bf8_e64 v[2:3], 3 op_sel:[1,0]
// GFX1250: v_cvt_pk_f32_bf8_e64 v[2:3], 3 op_sel:[1,0] ; encoding: [0x02,0x08,0xef,0xd5,0x83,0x00,0x01,0x02]

v_cvt_pk_f32_bf8_e64 v[2:3], v3
// GFX1250: v_cvt_pk_f32_bf8_e64 v[2:3], v3         ; encoding: [0x02,0x00,0xef,0xd5,0x03,0x01,0x01,0x02]

v_cvt_pk_f32_bf8_e64 v[2:3], v3 op_sel:[1,0]
// GFX1250: v_cvt_pk_f32_bf8_e64 v[2:3], v3 op_sel:[1,0] ; encoding: [0x02,0x08,0xef,0xd5,0x03,0x01,0x01,0x02]

v_cvt_pk_f32_fp8_e64 v[2:3], s3
// GFX1250: v_cvt_pk_f32_fp8_e64 v[2:3], s3         ; encoding: [0x02,0x00,0xee,0xd5,0x03,0x00,0x01,0x02]

v_cvt_pk_f32_fp8_e64 v[2:3], s3 op_sel:[1,0]
// GFX1250: v_cvt_pk_f32_fp8_e64 v[2:3], s3 op_sel:[1,0] ; encoding: [0x02,0x08,0xee,0xd5,0x03,0x00,0x01,0x02]

v_cvt_pk_f32_fp8_e64 v[2:3], 3
// GFX1250: v_cvt_pk_f32_fp8_e64 v[2:3], 3          ; encoding: [0x02,0x00,0xee,0xd5,0x83,0x00,0x01,0x02]

v_cvt_pk_f32_fp8_e64 v[2:3], 3 op_sel:[1,0]
// GFX1250: v_cvt_pk_f32_fp8_e64 v[2:3], 3 op_sel:[1,0] ; encoding: [0x02,0x08,0xee,0xd5,0x83,0x00,0x01,0x02]

v_cvt_pk_f32_fp8_e64 v[2:3], v3
// GFX1250: v_cvt_pk_f32_fp8_e64 v[2:3], v3         ; encoding: [0x02,0x00,0xee,0xd5,0x03,0x01,0x01,0x02]

v_cvt_pk_f32_fp8_e64 v[2:3], v3 op_sel:[1,0]
// GFX1250: v_cvt_pk_f32_fp8_e64 v[2:3], v3 op_sel:[1,0] ; encoding: [0x02,0x08,0xee,0xd5,0x03,0x01,0x01,0x02]

v_cvt_pk_f32_bf8_e64 v[4:5], s3
// GFX1250: v_cvt_pk_f32_bf8_e64 v[4:5], s3         ; encoding: [0x04,0x00,0xef,0xd5,0x03,0x00,0x01,0x02]

v_cvt_pk_f32_bf8_e64 v[4:5], s3 op_sel:[1,0]
// GFX1250: v_cvt_pk_f32_bf8_e64 v[4:5], s3 op_sel:[1,0] ; encoding: [0x04,0x08,0xef,0xd5,0x03,0x00,0x01,0x02]

v_cvt_pk_f32_bf8_e64 v[4:5], 3 op_sel:[1,0]
// GFX1250: v_cvt_pk_f32_bf8_e64 v[4:5], 3 op_sel:[1,0] ; encoding: [0x04,0x08,0xef,0xd5,0x83,0x00,0x01,0x02]

v_cvt_pk_f32_bf8_e64 v[4:5], v3
// GFX1250: v_cvt_pk_f32_bf8_e64 v[4:5], v3         ; encoding: [0x04,0x00,0xef,0xd5,0x03,0x01,0x01,0x02]

v_cvt_pk_f32_bf8_e64 v[4:5], v3 op_sel:[1,0]
// GFX1250: v_cvt_pk_f32_bf8_e64 v[4:5], v3 op_sel:[1,0] ; encoding: [0x04,0x08,0xef,0xd5,0x03,0x01,0x01,0x02]

v_cvt_pk_f32_fp8_e64 v[4:5], s3
// GFX1250: v_cvt_pk_f32_fp8_e64 v[4:5], s3         ; encoding: [0x04,0x00,0xee,0xd5,0x03,0x00,0x01,0x02]

v_cvt_pk_f32_fp8_e64 v[4:5], 3
// GFX1250: v_cvt_pk_f32_fp8_e64 v[4:5], 3          ; encoding: [0x04,0x00,0xee,0xd5,0x83,0x00,0x01,0x02]

v_cvt_pk_f32_fp8_e64 v[4:5], 3 op_sel:[1,0]
// GFX1250: v_cvt_pk_f32_fp8_e64 v[4:5], 3 op_sel:[1,0] ; encoding: [0x04,0x08,0xee,0xd5,0x83,0x00,0x01,0x02]

v_cvt_pk_f32_fp8_e64 v[4:5], v3
// GFX1250: v_cvt_pk_f32_fp8_e64 v[4:5], v3         ; encoding: [0x04,0x00,0xee,0xd5,0x03,0x01,0x01,0x02]

v_cvt_pk_f32_fp8_e64 v[4:5], v3 op_sel:[1,0]
// GFX1250: v_cvt_pk_f32_fp8_e64 v[4:5], v3 op_sel:[1,0] ; encoding: [0x04,0x08,0xee,0xd5,0x03,0x01,0x01,0x02]

v_cvt_f16_f32_e64 v5, v1
// GFX1250: v_cvt_f16_f32_e64 v5, v1                ; encoding: [0x05,0x00,0x8a,0xd5,0x01,0x01,0x01,0x02]

v_cvt_f16_f32_e64 v5, v255
// GFX1250: v_cvt_f16_f32_e64 v5, v255              ; encoding: [0x05,0x00,0x8a,0xd5,0xff,0x01,0x01,0x02]

v_cvt_f16_f32_e64 v5, s1
// GFX1250: v_cvt_f16_f32_e64 v5, s1                ; encoding: [0x05,0x00,0x8a,0xd5,0x01,0x00,0x01,0x02]

v_cvt_f16_f32_e64 v5, s105
// GFX1250: v_cvt_f16_f32_e64 v5, s105              ; encoding: [0x05,0x00,0x8a,0xd5,0x69,0x00,0x01,0x02]

v_cvt_f16_f32_e64 v5, vcc_lo
// GFX1250: v_cvt_f16_f32_e64 v5, vcc_lo            ; encoding: [0x05,0x00,0x8a,0xd5,0x6a,0x00,0x01,0x02]

v_cvt_f16_f32_e64 v5, vcc_hi
// GFX1250: v_cvt_f16_f32_e64 v5, vcc_hi            ; encoding: [0x05,0x00,0x8a,0xd5,0x6b,0x00,0x01,0x02]

v_cvt_f16_f32_e64 v5, ttmp15
// GFX1250: v_cvt_f16_f32_e64 v5, ttmp15            ; encoding: [0x05,0x00,0x8a,0xd5,0x7b,0x00,0x01,0x02]

v_cvt_f16_f32_e64 v5, m0
// GFX1250: v_cvt_f16_f32_e64 v5, m0                ; encoding: [0x05,0x00,0x8a,0xd5,0x7d,0x00,0x01,0x02]

v_cvt_f16_f32_e64 v5, exec_lo
// GFX1250: v_cvt_f16_f32_e64 v5, exec_lo           ; encoding: [0x05,0x00,0x8a,0xd5,0x7e,0x00,0x01,0x02]

v_cvt_f16_f32_e64 v5, exec_hi
// GFX1250: v_cvt_f16_f32_e64 v5, exec_hi           ; encoding: [0x05,0x00,0x8a,0xd5,0x7f,0x00,0x01,0x02]

v_cvt_f16_f32_e64 v5, null
// GFX1250: v_cvt_f16_f32_e64 v5, null              ; encoding: [0x05,0x00,0x8a,0xd5,0x7c,0x00,0x01,0x02]

v_cvt_f16_f32_e64 v5, -1
// GFX1250: v_cvt_f16_f32_e64 v5, -1                ; encoding: [0x05,0x00,0x8a,0xd5,0xc1,0x00,0x01,0x02]

v_cvt_f16_f32_e64 v5, 0.5 mul:2
// GFX1250: v_cvt_f16_f32_e64 v5, 0.5 mul:2         ; encoding: [0x05,0x00,0x8a,0xd5,0xf0,0x00,0x01,0x0a]

v_cvt_f16_f32_e64 v5, src_scc mul:4
// GFX1250: v_cvt_f16_f32_e64 v5, src_scc mul:4     ; encoding: [0x05,0x00,0x8a,0xd5,0xfd,0x00,0x01,0x12]

v_cvt_f16_f32_e64 v255, -|0xaf123456| clamp div:2
// GFX1250: v_cvt_f16_f32_e64 v255, -|0xaf123456| clamp div:2 ; encoding: [0xff,0x81,0x8a,0xd5,0xff,0x00,0x01,0x3a,0x56,0x34,0x12,0xaf]

v_cvt_f16_i16_e64 v5, v1
// GFX1250: v_cvt_f16_i16_e64 v5, v1                ; encoding: [0x05,0x00,0xd1,0xd5,0x01,0x01,0x01,0x02]

v_cvt_f16_i16_e64 v5, v255
// GFX1250: v_cvt_f16_i16_e64 v5, v255              ; encoding: [0x05,0x00,0xd1,0xd5,0xff,0x01,0x01,0x02]

v_cvt_f16_i16_e64 v5, s1
// GFX1250: v_cvt_f16_i16_e64 v5, s1                ; encoding: [0x05,0x00,0xd1,0xd5,0x01,0x00,0x01,0x02]

v_cvt_f16_i16_e64 v5, s105
// GFX1250: v_cvt_f16_i16_e64 v5, s105              ; encoding: [0x05,0x00,0xd1,0xd5,0x69,0x00,0x01,0x02]

v_cvt_f16_i16_e64 v5, vcc_lo
// GFX1250: v_cvt_f16_i16_e64 v5, vcc_lo            ; encoding: [0x05,0x00,0xd1,0xd5,0x6a,0x00,0x01,0x02]

v_cvt_f16_i16_e64 v5, vcc_hi
// GFX1250: v_cvt_f16_i16_e64 v5, vcc_hi            ; encoding: [0x05,0x00,0xd1,0xd5,0x6b,0x00,0x01,0x02]

v_cvt_f16_i16_e64 v5, ttmp15
// GFX1250: v_cvt_f16_i16_e64 v5, ttmp15            ; encoding: [0x05,0x00,0xd1,0xd5,0x7b,0x00,0x01,0x02]

v_cvt_f16_i16_e64 v5, m0
// GFX1250: v_cvt_f16_i16_e64 v5, m0                ; encoding: [0x05,0x00,0xd1,0xd5,0x7d,0x00,0x01,0x02]

v_cvt_f16_i16_e64 v5, exec_lo
// GFX1250: v_cvt_f16_i16_e64 v5, exec_lo           ; encoding: [0x05,0x00,0xd1,0xd5,0x7e,0x00,0x01,0x02]

v_cvt_f16_i16_e64 v5, exec_hi
// GFX1250: v_cvt_f16_i16_e64 v5, exec_hi           ; encoding: [0x05,0x00,0xd1,0xd5,0x7f,0x00,0x01,0x02]

v_cvt_f16_i16_e64 v5, null
// GFX1250: v_cvt_f16_i16_e64 v5, null              ; encoding: [0x05,0x00,0xd1,0xd5,0x7c,0x00,0x01,0x02]

v_cvt_f16_i16_e64 v5, -1
// GFX1250: v_cvt_f16_i16_e64 v5, -1                ; encoding: [0x05,0x00,0xd1,0xd5,0xc1,0x00,0x01,0x02]

v_cvt_f16_i16_e64 v5, 0.5 mul:2
// GFX1250: v_cvt_f16_i16_e64 v5, 0.5 mul:2         ; encoding: [0x05,0x00,0xd1,0xd5,0xf0,0x00,0x01,0x0a]

v_cvt_f16_i16_e64 v5, src_scc mul:4
// GFX1250: v_cvt_f16_i16_e64 v5, src_scc mul:4     ; encoding: [0x05,0x00,0xd1,0xd5,0xfd,0x00,0x01,0x12]

v_cvt_f16_i16_e64 v255, 0xfe0b clamp div:2
// GFX1250: v_cvt_f16_i16_e64 v255, 0xfe0b clamp div:2 ; encoding: [0xff,0x80,0xd1,0xd5,0xff,0x00,0x01,0x1a,0x0b,0xfe,0x00,0x00]

v_cvt_f16_u16_e64 v5, v1
// GFX1250: v_cvt_f16_u16_e64 v5, v1                ; encoding: [0x05,0x00,0xd0,0xd5,0x01,0x01,0x01,0x02]

v_cvt_f16_u16_e64 v5, v255
// GFX1250: v_cvt_f16_u16_e64 v5, v255              ; encoding: [0x05,0x00,0xd0,0xd5,0xff,0x01,0x01,0x02]

v_cvt_f16_u16_e64 v5, s1
// GFX1250: v_cvt_f16_u16_e64 v5, s1                ; encoding: [0x05,0x00,0xd0,0xd5,0x01,0x00,0x01,0x02]

v_cvt_f16_u16_e64 v5, s105
// GFX1250: v_cvt_f16_u16_e64 v5, s105              ; encoding: [0x05,0x00,0xd0,0xd5,0x69,0x00,0x01,0x02]

v_cvt_f16_u16_e64 v5, vcc_lo
// GFX1250: v_cvt_f16_u16_e64 v5, vcc_lo            ; encoding: [0x05,0x00,0xd0,0xd5,0x6a,0x00,0x01,0x02]

v_cvt_f16_u16_e64 v5, vcc_hi
// GFX1250: v_cvt_f16_u16_e64 v5, vcc_hi            ; encoding: [0x05,0x00,0xd0,0xd5,0x6b,0x00,0x01,0x02]

v_cvt_f16_u16_e64 v5, ttmp15
// GFX1250: v_cvt_f16_u16_e64 v5, ttmp15            ; encoding: [0x05,0x00,0xd0,0xd5,0x7b,0x00,0x01,0x02]

v_cvt_f16_u16_e64 v5, m0
// GFX1250: v_cvt_f16_u16_e64 v5, m0                ; encoding: [0x05,0x00,0xd0,0xd5,0x7d,0x00,0x01,0x02]

v_cvt_f16_u16_e64 v5, exec_lo
// GFX1250: v_cvt_f16_u16_e64 v5, exec_lo           ; encoding: [0x05,0x00,0xd0,0xd5,0x7e,0x00,0x01,0x02]

v_cvt_f16_u16_e64 v5, exec_hi
// GFX1250: v_cvt_f16_u16_e64 v5, exec_hi           ; encoding: [0x05,0x00,0xd0,0xd5,0x7f,0x00,0x01,0x02]

v_cvt_f16_u16_e64 v5, null
// GFX1250: v_cvt_f16_u16_e64 v5, null              ; encoding: [0x05,0x00,0xd0,0xd5,0x7c,0x00,0x01,0x02]

v_cvt_f16_u16_e64 v5, -1
// GFX1250: v_cvt_f16_u16_e64 v5, -1                ; encoding: [0x05,0x00,0xd0,0xd5,0xc1,0x00,0x01,0x02]

v_cvt_f16_u16_e64 v5, 0.5 mul:2
// GFX1250: v_cvt_f16_u16_e64 v5, 0.5 mul:2         ; encoding: [0x05,0x00,0xd0,0xd5,0xf0,0x00,0x01,0x0a]

v_cvt_f16_u16_e64 v5, src_scc mul:4
// GFX1250: v_cvt_f16_u16_e64 v5, src_scc mul:4     ; encoding: [0x05,0x00,0xd0,0xd5,0xfd,0x00,0x01,0x12]

v_cvt_f16_u16_e64 v255, 0xfe0b clamp div:2
// GFX1250: v_cvt_f16_u16_e64 v255, 0xfe0b clamp div:2 ; encoding: [0xff,0x80,0xd0,0xd5,0xff,0x00,0x01,0x1a,0x0b,0xfe,0x00,0x00]

v_cvt_f32_f16_e64 v5, v1
// GFX1250: v_cvt_f32_f16_e64 v5, v1                ; encoding: [0x05,0x00,0x8b,0xd5,0x01,0x01,0x01,0x02]

v_cvt_f32_f16_e64 v5, v255
// GFX1250: v_cvt_f32_f16_e64 v5, v255              ; encoding: [0x05,0x00,0x8b,0xd5,0xff,0x01,0x01,0x02]

v_cvt_f32_f16_e64 v5, s1
// GFX1250: v_cvt_f32_f16_e64 v5, s1                ; encoding: [0x05,0x00,0x8b,0xd5,0x01,0x00,0x01,0x02]

v_cvt_f32_f16_e64 v5, s105
// GFX1250: v_cvt_f32_f16_e64 v5, s105              ; encoding: [0x05,0x00,0x8b,0xd5,0x69,0x00,0x01,0x02]

v_cvt_f32_f16_e64 v5, vcc_lo
// GFX1250: v_cvt_f32_f16_e64 v5, vcc_lo            ; encoding: [0x05,0x00,0x8b,0xd5,0x6a,0x00,0x01,0x02]

v_cvt_f32_f16_e64 v5, vcc_hi
// GFX1250: v_cvt_f32_f16_e64 v5, vcc_hi            ; encoding: [0x05,0x00,0x8b,0xd5,0x6b,0x00,0x01,0x02]

v_cvt_f32_f16_e64 v5, ttmp15
// GFX1250: v_cvt_f32_f16_e64 v5, ttmp15            ; encoding: [0x05,0x00,0x8b,0xd5,0x7b,0x00,0x01,0x02]

v_cvt_f32_f16_e64 v5, m0
// GFX1250: v_cvt_f32_f16_e64 v5, m0                ; encoding: [0x05,0x00,0x8b,0xd5,0x7d,0x00,0x01,0x02]

v_cvt_f32_f16_e64 v5, exec_lo
// GFX1250: v_cvt_f32_f16_e64 v5, exec_lo           ; encoding: [0x05,0x00,0x8b,0xd5,0x7e,0x00,0x01,0x02]

v_cvt_f32_f16_e64 v5, exec_hi
// GFX1250: v_cvt_f32_f16_e64 v5, exec_hi           ; encoding: [0x05,0x00,0x8b,0xd5,0x7f,0x00,0x01,0x02]

v_cvt_f32_f16_e64 v5, null
// GFX1250: v_cvt_f32_f16_e64 v5, null              ; encoding: [0x05,0x00,0x8b,0xd5,0x7c,0x00,0x01,0x02]

v_cvt_f32_f16_e64 v5, -1
// GFX1250: v_cvt_f32_f16_e64 v5, -1                ; encoding: [0x05,0x00,0x8b,0xd5,0xc1,0x00,0x01,0x02]

v_cvt_f32_f16_e64 v5, 0.5 mul:2
// GFX1250: v_cvt_f32_f16_e64 v5, 0.5 mul:2         ; encoding: [0x05,0x00,0x8b,0xd5,0xf0,0x00,0x01,0x0a]

v_cvt_f32_f16_e64 v5, src_scc mul:4
// GFX1250: v_cvt_f32_f16_e64 v5, src_scc mul:4     ; encoding: [0x05,0x00,0x8b,0xd5,0xfd,0x00,0x01,0x12]

v_cvt_f32_f16_e64 v255, -|0xfe0b| clamp div:2
// GFX1250: v_cvt_f32_f16_e64 v255, -|0xfe0b| clamp div:2 ; encoding: [0xff,0x81,0x8b,0xd5,0xff,0x00,0x01,0x3a,0x0b,0xfe,0x00,0x00]

v_cvt_f32_f64_e64 v5, v[2:3]
// GFX1250: v_cvt_f32_f64_e64 v5, v[2:3]            ; encoding: [0x05,0x00,0x8f,0xd5,0x02,0x01,0x01,0x02]

v_cvt_f32_f64_e64 v5, v[254:255]
// GFX1250: v_cvt_f32_f64_e64 v5, v[254:255]        ; encoding: [0x05,0x00,0x8f,0xd5,0xfe,0x01,0x01,0x02]

v_cvt_f32_f64_e64 v5, s[2:3]
// GFX1250: v_cvt_f32_f64_e64 v5, s[2:3]            ; encoding: [0x05,0x00,0x8f,0xd5,0x02,0x00,0x01,0x02]

v_cvt_f32_f64_e64 v5, s[104:105]
// GFX1250: v_cvt_f32_f64_e64 v5, s[104:105]        ; encoding: [0x05,0x00,0x8f,0xd5,0x68,0x00,0x01,0x02]

v_cvt_f32_f64_e64 v5, vcc
// GFX1250: v_cvt_f32_f64_e64 v5, vcc               ; encoding: [0x05,0x00,0x8f,0xd5,0x6a,0x00,0x01,0x02]

v_cvt_f32_f64_e64 v5, ttmp[14:15]
// GFX1250: v_cvt_f32_f64_e64 v5, ttmp[14:15]       ; encoding: [0x05,0x00,0x8f,0xd5,0x7a,0x00,0x01,0x02]

v_cvt_f32_f64_e64 v5, exec
// GFX1250: v_cvt_f32_f64_e64 v5, exec              ; encoding: [0x05,0x00,0x8f,0xd5,0x7e,0x00,0x01,0x02]

v_cvt_f32_f64_e64 v5, null
// GFX1250: v_cvt_f32_f64_e64 v5, null              ; encoding: [0x05,0x00,0x8f,0xd5,0x7c,0x00,0x01,0x02]

v_cvt_f32_f64_e64 v5, -1
// GFX1250: v_cvt_f32_f64_e64 v5, -1                ; encoding: [0x05,0x00,0x8f,0xd5,0xc1,0x00,0x01,0x02]

v_cvt_f32_f64_e64 v5, 0.5 mul:2
// GFX1250: v_cvt_f32_f64_e64 v5, 0.5 mul:2         ; encoding: [0x05,0x00,0x8f,0xd5,0xf0,0x00,0x01,0x0a]

v_cvt_f32_f64_e64 v5, -|src_scc| mul:4
// GFX1250: v_cvt_f32_f64_e64 v5, -|src_scc| mul:4  ; encoding: [0x05,0x01,0x8f,0xd5,0xfd,0x00,0x01,0x32]

v_cvt_f32_f64_e64 v255, 0xaf123456 clamp div:2
// GFX1250: v_cvt_f32_f64_e64 v255, 0xaf123456 clamp div:2 ; encoding: [0xff,0x80,0x8f,0xd5,0xff,0x00,0x01,0x1a,0x56,0x34,0x12,0xaf]

v_cvt_f32_i32_e64 v5, v1
// GFX1250: v_cvt_f32_i32_e64 v5, v1                ; encoding: [0x05,0x00,0x85,0xd5,0x01,0x01,0x01,0x02]

v_cvt_f32_i32_e64 v5, v255
// GFX1250: v_cvt_f32_i32_e64 v5, v255              ; encoding: [0x05,0x00,0x85,0xd5,0xff,0x01,0x01,0x02]

v_cvt_f32_i32_e64 v5, s1
// GFX1250: v_cvt_f32_i32_e64 v5, s1                ; encoding: [0x05,0x00,0x85,0xd5,0x01,0x00,0x01,0x02]

v_cvt_f32_i32_e64 v5, s105
// GFX1250: v_cvt_f32_i32_e64 v5, s105              ; encoding: [0x05,0x00,0x85,0xd5,0x69,0x00,0x01,0x02]

v_cvt_f32_i32_e64 v5, vcc_lo
// GFX1250: v_cvt_f32_i32_e64 v5, vcc_lo            ; encoding: [0x05,0x00,0x85,0xd5,0x6a,0x00,0x01,0x02]

v_cvt_f32_i32_e64 v5, vcc_hi
// GFX1250: v_cvt_f32_i32_e64 v5, vcc_hi            ; encoding: [0x05,0x00,0x85,0xd5,0x6b,0x00,0x01,0x02]

v_cvt_f32_i32_e64 v5, ttmp15
// GFX1250: v_cvt_f32_i32_e64 v5, ttmp15            ; encoding: [0x05,0x00,0x85,0xd5,0x7b,0x00,0x01,0x02]

v_cvt_f32_i32_e64 v5, m0
// GFX1250: v_cvt_f32_i32_e64 v5, m0                ; encoding: [0x05,0x00,0x85,0xd5,0x7d,0x00,0x01,0x02]

v_cvt_f32_i32_e64 v5, exec_lo
// GFX1250: v_cvt_f32_i32_e64 v5, exec_lo           ; encoding: [0x05,0x00,0x85,0xd5,0x7e,0x00,0x01,0x02]

v_cvt_f32_i32_e64 v5, exec_hi
// GFX1250: v_cvt_f32_i32_e64 v5, exec_hi           ; encoding: [0x05,0x00,0x85,0xd5,0x7f,0x00,0x01,0x02]

v_cvt_f32_i32_e64 v5, null
// GFX1250: v_cvt_f32_i32_e64 v5, null              ; encoding: [0x05,0x00,0x85,0xd5,0x7c,0x00,0x01,0x02]

v_cvt_f32_i32_e64 v5, -1
// GFX1250: v_cvt_f32_i32_e64 v5, -1                ; encoding: [0x05,0x00,0x85,0xd5,0xc1,0x00,0x01,0x02]

v_cvt_f32_i32_e64 v5, 0.5 mul:2
// GFX1250: v_cvt_f32_i32_e64 v5, 0.5 mul:2         ; encoding: [0x05,0x00,0x85,0xd5,0xf0,0x00,0x01,0x0a]

v_cvt_f32_i32_e64 v5, src_scc mul:4
// GFX1250: v_cvt_f32_i32_e64 v5, src_scc mul:4     ; encoding: [0x05,0x00,0x85,0xd5,0xfd,0x00,0x01,0x12]

v_cvt_f32_i32_e64 v255, 0xaf123456 clamp div:2
// GFX1250: v_cvt_f32_i32_e64 v255, 0xaf123456 clamp div:2 ; encoding: [0xff,0x80,0x85,0xd5,0xff,0x00,0x01,0x1a,0x56,0x34,0x12,0xaf]

v_cvt_f32_u32_e64 v5, v1
// GFX1250: v_cvt_f32_u32_e64 v5, v1                ; encoding: [0x05,0x00,0x86,0xd5,0x01,0x01,0x01,0x02]

v_cvt_f32_u32_e64 v5, v255
// GFX1250: v_cvt_f32_u32_e64 v5, v255              ; encoding: [0x05,0x00,0x86,0xd5,0xff,0x01,0x01,0x02]

v_cvt_f32_u32_e64 v5, s1
// GFX1250: v_cvt_f32_u32_e64 v5, s1                ; encoding: [0x05,0x00,0x86,0xd5,0x01,0x00,0x01,0x02]

v_cvt_f32_u32_e64 v5, s105
// GFX1250: v_cvt_f32_u32_e64 v5, s105              ; encoding: [0x05,0x00,0x86,0xd5,0x69,0x00,0x01,0x02]

v_cvt_f32_u32_e64 v5, vcc_lo
// GFX1250: v_cvt_f32_u32_e64 v5, vcc_lo            ; encoding: [0x05,0x00,0x86,0xd5,0x6a,0x00,0x01,0x02]

v_cvt_f32_u32_e64 v5, vcc_hi
// GFX1250: v_cvt_f32_u32_e64 v5, vcc_hi            ; encoding: [0x05,0x00,0x86,0xd5,0x6b,0x00,0x01,0x02]

v_cvt_f32_u32_e64 v5, ttmp15
// GFX1250: v_cvt_f32_u32_e64 v5, ttmp15            ; encoding: [0x05,0x00,0x86,0xd5,0x7b,0x00,0x01,0x02]

v_cvt_f32_u32_e64 v5, m0
// GFX1250: v_cvt_f32_u32_e64 v5, m0                ; encoding: [0x05,0x00,0x86,0xd5,0x7d,0x00,0x01,0x02]

v_cvt_f32_u32_e64 v5, exec_lo
// GFX1250: v_cvt_f32_u32_e64 v5, exec_lo           ; encoding: [0x05,0x00,0x86,0xd5,0x7e,0x00,0x01,0x02]

v_cvt_f32_u32_e64 v5, exec_hi
// GFX1250: v_cvt_f32_u32_e64 v5, exec_hi           ; encoding: [0x05,0x00,0x86,0xd5,0x7f,0x00,0x01,0x02]

v_cvt_f32_u32_e64 v5, null
// GFX1250: v_cvt_f32_u32_e64 v5, null              ; encoding: [0x05,0x00,0x86,0xd5,0x7c,0x00,0x01,0x02]

v_cvt_f32_u32_e64 v5, -1
// GFX1250: v_cvt_f32_u32_e64 v5, -1                ; encoding: [0x05,0x00,0x86,0xd5,0xc1,0x00,0x01,0x02]

v_cvt_f32_u32_e64 v5, 0.5 mul:2
// GFX1250: v_cvt_f32_u32_e64 v5, 0.5 mul:2         ; encoding: [0x05,0x00,0x86,0xd5,0xf0,0x00,0x01,0x0a]

v_cvt_f32_u32_e64 v5, src_scc mul:4
// GFX1250: v_cvt_f32_u32_e64 v5, src_scc mul:4     ; encoding: [0x05,0x00,0x86,0xd5,0xfd,0x00,0x01,0x12]

v_cvt_f32_u32_e64 v255, 0xaf123456 clamp div:2
// GFX1250: v_cvt_f32_u32_e64 v255, 0xaf123456 clamp div:2 ; encoding: [0xff,0x80,0x86,0xd5,0xff,0x00,0x01,0x1a,0x56,0x34,0x12,0xaf]

v_cvt_f32_ubyte0_e64 v5, v1
// GFX1250: v_cvt_f32_ubyte0_e64 v5, v1             ; encoding: [0x05,0x00,0x91,0xd5,0x01,0x01,0x01,0x02]

v_cvt_f32_ubyte0_e64 v5, v255
// GFX1250: v_cvt_f32_ubyte0_e64 v5, v255           ; encoding: [0x05,0x00,0x91,0xd5,0xff,0x01,0x01,0x02]

v_cvt_f32_ubyte0_e64 v5, s1
// GFX1250: v_cvt_f32_ubyte0_e64 v5, s1             ; encoding: [0x05,0x00,0x91,0xd5,0x01,0x00,0x01,0x02]

v_cvt_f32_ubyte0_e64 v5, s105
// GFX1250: v_cvt_f32_ubyte0_e64 v5, s105           ; encoding: [0x05,0x00,0x91,0xd5,0x69,0x00,0x01,0x02]

v_cvt_f32_ubyte0_e64 v5, vcc_lo
// GFX1250: v_cvt_f32_ubyte0_e64 v5, vcc_lo         ; encoding: [0x05,0x00,0x91,0xd5,0x6a,0x00,0x01,0x02]

v_cvt_f32_ubyte0_e64 v5, vcc_hi
// GFX1250: v_cvt_f32_ubyte0_e64 v5, vcc_hi         ; encoding: [0x05,0x00,0x91,0xd5,0x6b,0x00,0x01,0x02]

v_cvt_f32_ubyte0_e64 v5, ttmp15
// GFX1250: v_cvt_f32_ubyte0_e64 v5, ttmp15         ; encoding: [0x05,0x00,0x91,0xd5,0x7b,0x00,0x01,0x02]

v_cvt_f32_ubyte0_e64 v5, m0
// GFX1250: v_cvt_f32_ubyte0_e64 v5, m0             ; encoding: [0x05,0x00,0x91,0xd5,0x7d,0x00,0x01,0x02]

v_cvt_f32_ubyte0_e64 v5, exec_lo
// GFX1250: v_cvt_f32_ubyte0_e64 v5, exec_lo        ; encoding: [0x05,0x00,0x91,0xd5,0x7e,0x00,0x01,0x02]

v_cvt_f32_ubyte0_e64 v5, exec_hi
// GFX1250: v_cvt_f32_ubyte0_e64 v5, exec_hi        ; encoding: [0x05,0x00,0x91,0xd5,0x7f,0x00,0x01,0x02]

v_cvt_f32_ubyte0_e64 v5, null
// GFX1250: v_cvt_f32_ubyte0_e64 v5, null           ; encoding: [0x05,0x00,0x91,0xd5,0x7c,0x00,0x01,0x02]

v_cvt_f32_ubyte0_e64 v5, -1
// GFX1250: v_cvt_f32_ubyte0_e64 v5, -1             ; encoding: [0x05,0x00,0x91,0xd5,0xc1,0x00,0x01,0x02]

v_cvt_f32_ubyte0_e64 v5, 0.5 mul:2
// GFX1250: v_cvt_f32_ubyte0_e64 v5, 0.5 mul:2      ; encoding: [0x05,0x00,0x91,0xd5,0xf0,0x00,0x01,0x0a]

v_cvt_f32_ubyte0_e64 v5, src_scc mul:4
// GFX1250: v_cvt_f32_ubyte0_e64 v5, src_scc mul:4  ; encoding: [0x05,0x00,0x91,0xd5,0xfd,0x00,0x01,0x12]

v_cvt_f32_ubyte0_e64 v255, 0xaf123456 clamp div:2
// GFX1250: v_cvt_f32_ubyte0_e64 v255, 0xaf123456 clamp div:2 ; encoding: [0xff,0x80,0x91,0xd5,0xff,0x00,0x01,0x1a,0x56,0x34,0x12,0xaf]

v_cvt_f32_ubyte1_e64 v5, v1
// GFX1250: v_cvt_f32_ubyte1_e64 v5, v1             ; encoding: [0x05,0x00,0x92,0xd5,0x01,0x01,0x01,0x02]

v_cvt_f32_ubyte1_e64 v5, v255
// GFX1250: v_cvt_f32_ubyte1_e64 v5, v255           ; encoding: [0x05,0x00,0x92,0xd5,0xff,0x01,0x01,0x02]

v_cvt_f32_ubyte1_e64 v5, s1
// GFX1250: v_cvt_f32_ubyte1_e64 v5, s1             ; encoding: [0x05,0x00,0x92,0xd5,0x01,0x00,0x01,0x02]

v_cvt_f32_ubyte1_e64 v5, s105
// GFX1250: v_cvt_f32_ubyte1_e64 v5, s105           ; encoding: [0x05,0x00,0x92,0xd5,0x69,0x00,0x01,0x02]

v_cvt_f32_ubyte1_e64 v5, vcc_lo
// GFX1250: v_cvt_f32_ubyte1_e64 v5, vcc_lo         ; encoding: [0x05,0x00,0x92,0xd5,0x6a,0x00,0x01,0x02]

v_cvt_f32_ubyte1_e64 v5, vcc_hi
// GFX1250: v_cvt_f32_ubyte1_e64 v5, vcc_hi         ; encoding: [0x05,0x00,0x92,0xd5,0x6b,0x00,0x01,0x02]

v_cvt_f32_ubyte1_e64 v5, ttmp15
// GFX1250: v_cvt_f32_ubyte1_e64 v5, ttmp15         ; encoding: [0x05,0x00,0x92,0xd5,0x7b,0x00,0x01,0x02]

v_cvt_f32_ubyte1_e64 v5, m0
// GFX1250: v_cvt_f32_ubyte1_e64 v5, m0             ; encoding: [0x05,0x00,0x92,0xd5,0x7d,0x00,0x01,0x02]

v_cvt_f32_ubyte1_e64 v5, exec_lo
// GFX1250: v_cvt_f32_ubyte1_e64 v5, exec_lo        ; encoding: [0x05,0x00,0x92,0xd5,0x7e,0x00,0x01,0x02]

v_cvt_f32_ubyte1_e64 v5, exec_hi
// GFX1250: v_cvt_f32_ubyte1_e64 v5, exec_hi        ; encoding: [0x05,0x00,0x92,0xd5,0x7f,0x00,0x01,0x02]

v_cvt_f32_ubyte1_e64 v5, null
// GFX1250: v_cvt_f32_ubyte1_e64 v5, null           ; encoding: [0x05,0x00,0x92,0xd5,0x7c,0x00,0x01,0x02]

v_cvt_f32_ubyte1_e64 v5, -1
// GFX1250: v_cvt_f32_ubyte1_e64 v5, -1             ; encoding: [0x05,0x00,0x92,0xd5,0xc1,0x00,0x01,0x02]

v_cvt_f32_ubyte1_e64 v5, 0.5 mul:2
// GFX1250: v_cvt_f32_ubyte1_e64 v5, 0.5 mul:2      ; encoding: [0x05,0x00,0x92,0xd5,0xf0,0x00,0x01,0x0a]

v_cvt_f32_ubyte1_e64 v5, src_scc mul:4
// GFX1250: v_cvt_f32_ubyte1_e64 v5, src_scc mul:4  ; encoding: [0x05,0x00,0x92,0xd5,0xfd,0x00,0x01,0x12]

v_cvt_f32_ubyte1_e64 v255, 0xaf123456 clamp div:2
// GFX1250: v_cvt_f32_ubyte1_e64 v255, 0xaf123456 clamp div:2 ; encoding: [0xff,0x80,0x92,0xd5,0xff,0x00,0x01,0x1a,0x56,0x34,0x12,0xaf]

v_cvt_f32_ubyte2_e64 v5, v1
// GFX1250: v_cvt_f32_ubyte2_e64 v5, v1             ; encoding: [0x05,0x00,0x93,0xd5,0x01,0x01,0x01,0x02]

v_cvt_f32_ubyte2_e64 v5, v255
// GFX1250: v_cvt_f32_ubyte2_e64 v5, v255           ; encoding: [0x05,0x00,0x93,0xd5,0xff,0x01,0x01,0x02]

v_cvt_f32_ubyte2_e64 v5, s1
// GFX1250: v_cvt_f32_ubyte2_e64 v5, s1             ; encoding: [0x05,0x00,0x93,0xd5,0x01,0x00,0x01,0x02]

v_cvt_f32_ubyte2_e64 v5, s105
// GFX1250: v_cvt_f32_ubyte2_e64 v5, s105           ; encoding: [0x05,0x00,0x93,0xd5,0x69,0x00,0x01,0x02]

v_cvt_f32_ubyte2_e64 v5, vcc_lo
// GFX1250: v_cvt_f32_ubyte2_e64 v5, vcc_lo         ; encoding: [0x05,0x00,0x93,0xd5,0x6a,0x00,0x01,0x02]

v_cvt_f32_ubyte2_e64 v5, vcc_hi
// GFX1250: v_cvt_f32_ubyte2_e64 v5, vcc_hi         ; encoding: [0x05,0x00,0x93,0xd5,0x6b,0x00,0x01,0x02]

v_cvt_f32_ubyte2_e64 v5, ttmp15
// GFX1250: v_cvt_f32_ubyte2_e64 v5, ttmp15         ; encoding: [0x05,0x00,0x93,0xd5,0x7b,0x00,0x01,0x02]

v_cvt_f32_ubyte2_e64 v5, m0
// GFX1250: v_cvt_f32_ubyte2_e64 v5, m0             ; encoding: [0x05,0x00,0x93,0xd5,0x7d,0x00,0x01,0x02]

v_cvt_f32_ubyte2_e64 v5, exec_lo
// GFX1250: v_cvt_f32_ubyte2_e64 v5, exec_lo        ; encoding: [0x05,0x00,0x93,0xd5,0x7e,0x00,0x01,0x02]

v_cvt_f32_ubyte2_e64 v5, exec_hi
// GFX1250: v_cvt_f32_ubyte2_e64 v5, exec_hi        ; encoding: [0x05,0x00,0x93,0xd5,0x7f,0x00,0x01,0x02]

v_cvt_f32_ubyte2_e64 v5, null
// GFX1250: v_cvt_f32_ubyte2_e64 v5, null           ; encoding: [0x05,0x00,0x93,0xd5,0x7c,0x00,0x01,0x02]

v_cvt_f32_ubyte2_e64 v5, -1
// GFX1250: v_cvt_f32_ubyte2_e64 v5, -1             ; encoding: [0x05,0x00,0x93,0xd5,0xc1,0x00,0x01,0x02]

v_cvt_f32_ubyte2_e64 v5, 0.5 mul:2
// GFX1250: v_cvt_f32_ubyte2_e64 v5, 0.5 mul:2      ; encoding: [0x05,0x00,0x93,0xd5,0xf0,0x00,0x01,0x0a]

v_cvt_f32_ubyte2_e64 v5, src_scc mul:4
// GFX1250: v_cvt_f32_ubyte2_e64 v5, src_scc mul:4  ; encoding: [0x05,0x00,0x93,0xd5,0xfd,0x00,0x01,0x12]

v_cvt_f32_ubyte2_e64 v255, 0xaf123456 clamp div:2
// GFX1250: v_cvt_f32_ubyte2_e64 v255, 0xaf123456 clamp div:2 ; encoding: [0xff,0x80,0x93,0xd5,0xff,0x00,0x01,0x1a,0x56,0x34,0x12,0xaf]

v_cvt_f32_ubyte3_e64 v5, v1
// GFX1250: v_cvt_f32_ubyte3_e64 v5, v1             ; encoding: [0x05,0x00,0x94,0xd5,0x01,0x01,0x01,0x02]

v_cvt_f32_ubyte3_e64 v5, v255
// GFX1250: v_cvt_f32_ubyte3_e64 v5, v255           ; encoding: [0x05,0x00,0x94,0xd5,0xff,0x01,0x01,0x02]

v_cvt_f32_ubyte3_e64 v5, s1
// GFX1250: v_cvt_f32_ubyte3_e64 v5, s1             ; encoding: [0x05,0x00,0x94,0xd5,0x01,0x00,0x01,0x02]

v_cvt_f32_ubyte3_e64 v5, s105
// GFX1250: v_cvt_f32_ubyte3_e64 v5, s105           ; encoding: [0x05,0x00,0x94,0xd5,0x69,0x00,0x01,0x02]

v_cvt_f32_ubyte3_e64 v5, vcc_lo
// GFX1250: v_cvt_f32_ubyte3_e64 v5, vcc_lo         ; encoding: [0x05,0x00,0x94,0xd5,0x6a,0x00,0x01,0x02]

v_cvt_f32_ubyte3_e64 v5, vcc_hi
// GFX1250: v_cvt_f32_ubyte3_e64 v5, vcc_hi         ; encoding: [0x05,0x00,0x94,0xd5,0x6b,0x00,0x01,0x02]

v_cvt_f32_ubyte3_e64 v5, ttmp15
// GFX1250: v_cvt_f32_ubyte3_e64 v5, ttmp15         ; encoding: [0x05,0x00,0x94,0xd5,0x7b,0x00,0x01,0x02]

v_cvt_f32_ubyte3_e64 v5, m0
// GFX1250: v_cvt_f32_ubyte3_e64 v5, m0             ; encoding: [0x05,0x00,0x94,0xd5,0x7d,0x00,0x01,0x02]

v_cvt_f32_ubyte3_e64 v5, exec_lo
// GFX1250: v_cvt_f32_ubyte3_e64 v5, exec_lo        ; encoding: [0x05,0x00,0x94,0xd5,0x7e,0x00,0x01,0x02]

v_cvt_f32_ubyte3_e64 v5, exec_hi
// GFX1250: v_cvt_f32_ubyte3_e64 v5, exec_hi        ; encoding: [0x05,0x00,0x94,0xd5,0x7f,0x00,0x01,0x02]

v_cvt_f32_ubyte3_e64 v5, null
// GFX1250: v_cvt_f32_ubyte3_e64 v5, null           ; encoding: [0x05,0x00,0x94,0xd5,0x7c,0x00,0x01,0x02]

v_cvt_f32_ubyte3_e64 v5, -1
// GFX1250: v_cvt_f32_ubyte3_e64 v5, -1             ; encoding: [0x05,0x00,0x94,0xd5,0xc1,0x00,0x01,0x02]

v_cvt_f32_ubyte3_e64 v5, 0.5 mul:2
// GFX1250: v_cvt_f32_ubyte3_e64 v5, 0.5 mul:2      ; encoding: [0x05,0x00,0x94,0xd5,0xf0,0x00,0x01,0x0a]

v_cvt_f32_ubyte3_e64 v5, src_scc mul:4
// GFX1250: v_cvt_f32_ubyte3_e64 v5, src_scc mul:4  ; encoding: [0x05,0x00,0x94,0xd5,0xfd,0x00,0x01,0x12]

v_cvt_f32_ubyte3_e64 v255, 0xaf123456 clamp div:2
// GFX1250: v_cvt_f32_ubyte3_e64 v255, 0xaf123456 clamp div:2 ; encoding: [0xff,0x80,0x94,0xd5,0xff,0x00,0x01,0x1a,0x56,0x34,0x12,0xaf]

v_cvt_f64_f32_e64 v[6:7], v1
// GFX1250: v_cvt_f64_f32_e64 v[6:7], v1            ; encoding: [0x06,0x00,0x90,0xd5,0x01,0x01,0x01,0x02]

v_cvt_f64_f32_e64 v[6:7], v255
// GFX1250: v_cvt_f64_f32_e64 v[6:7], v255          ; encoding: [0x06,0x00,0x90,0xd5,0xff,0x01,0x01,0x02]

v_cvt_f64_f32_e64 v[6:7], s1
// GFX1250: v_cvt_f64_f32_e64 v[6:7], s1            ; encoding: [0x06,0x00,0x90,0xd5,0x01,0x00,0x01,0x02]

v_cvt_f64_f32_e64 v[6:7], s105
// GFX1250: v_cvt_f64_f32_e64 v[6:7], s105          ; encoding: [0x06,0x00,0x90,0xd5,0x69,0x00,0x01,0x02]

v_cvt_f64_f32_e64 v[6:7], vcc_lo
// GFX1250: v_cvt_f64_f32_e64 v[6:7], vcc_lo        ; encoding: [0x06,0x00,0x90,0xd5,0x6a,0x00,0x01,0x02]

v_cvt_f64_f32_e64 v[6:7], vcc_hi
// GFX1250: v_cvt_f64_f32_e64 v[6:7], vcc_hi        ; encoding: [0x06,0x00,0x90,0xd5,0x6b,0x00,0x01,0x02]

v_cvt_f64_f32_e64 v[6:7], ttmp15
// GFX1250: v_cvt_f64_f32_e64 v[6:7], ttmp15        ; encoding: [0x06,0x00,0x90,0xd5,0x7b,0x00,0x01,0x02]

v_cvt_f64_f32_e64 v[6:7], m0
// GFX1250: v_cvt_f64_f32_e64 v[6:7], m0            ; encoding: [0x06,0x00,0x90,0xd5,0x7d,0x00,0x01,0x02]

v_cvt_f64_f32_e64 v[6:7], exec_lo
// GFX1250: v_cvt_f64_f32_e64 v[6:7], exec_lo       ; encoding: [0x06,0x00,0x90,0xd5,0x7e,0x00,0x01,0x02]

v_cvt_f64_f32_e64 v[6:7], exec_hi
// GFX1250: v_cvt_f64_f32_e64 v[6:7], exec_hi       ; encoding: [0x06,0x00,0x90,0xd5,0x7f,0x00,0x01,0x02]

v_cvt_f64_f32_e64 v[6:7], null
// GFX1250: v_cvt_f64_f32_e64 v[6:7], null          ; encoding: [0x06,0x00,0x90,0xd5,0x7c,0x00,0x01,0x02]

v_cvt_f64_f32_e64 v[6:7], -1
// GFX1250: v_cvt_f64_f32_e64 v[6:7], -1            ; encoding: [0x06,0x00,0x90,0xd5,0xc1,0x00,0x01,0x02]

v_cvt_f64_f32_e64 v[6:7], 0.5 mul:2
// GFX1250: v_cvt_f64_f32_e64 v[6:7], 0.5 mul:2     ; encoding: [0x06,0x00,0x90,0xd5,0xf0,0x00,0x01,0x0a]

v_cvt_f64_f32_e64 v[6:7], src_scc mul:4
// GFX1250: v_cvt_f64_f32_e64 v[6:7], src_scc mul:4 ; encoding: [0x06,0x00,0x90,0xd5,0xfd,0x00,0x01,0x12]

v_cvt_f64_f32_e64 v[254:255], -|0xaf123456| clamp div:2
// GFX1250: v_cvt_f64_f32_e64 v[254:255], -|0xaf123456| clamp div:2 ; encoding: [0xfe,0x81,0x90,0xd5,0xff,0x00,0x01,0x3a,0x56,0x34,0x12,0xaf]

v_cvt_f64_i32_e64 v[6:7], v1
// GFX1250: v_cvt_f64_i32_e64 v[6:7], v1            ; encoding: [0x06,0x00,0x84,0xd5,0x01,0x01,0x01,0x02]

v_cvt_f64_i32_e64 v[6:7], v255
// GFX1250: v_cvt_f64_i32_e64 v[6:7], v255          ; encoding: [0x06,0x00,0x84,0xd5,0xff,0x01,0x01,0x02]

v_cvt_f64_i32_e64 v[6:7], s1
// GFX1250: v_cvt_f64_i32_e64 v[6:7], s1            ; encoding: [0x06,0x00,0x84,0xd5,0x01,0x00,0x01,0x02]

v_cvt_f64_i32_e64 v[6:7], s105
// GFX1250: v_cvt_f64_i32_e64 v[6:7], s105          ; encoding: [0x06,0x00,0x84,0xd5,0x69,0x00,0x01,0x02]

v_cvt_f64_i32_e64 v[6:7], vcc_lo
// GFX1250: v_cvt_f64_i32_e64 v[6:7], vcc_lo        ; encoding: [0x06,0x00,0x84,0xd5,0x6a,0x00,0x01,0x02]

v_cvt_f64_i32_e64 v[6:7], vcc_hi
// GFX1250: v_cvt_f64_i32_e64 v[6:7], vcc_hi        ; encoding: [0x06,0x00,0x84,0xd5,0x6b,0x00,0x01,0x02]

v_cvt_f64_i32_e64 v[6:7], ttmp15
// GFX1250: v_cvt_f64_i32_e64 v[6:7], ttmp15        ; encoding: [0x06,0x00,0x84,0xd5,0x7b,0x00,0x01,0x02]

v_cvt_f64_i32_e64 v[6:7], m0
// GFX1250: v_cvt_f64_i32_e64 v[6:7], m0            ; encoding: [0x06,0x00,0x84,0xd5,0x7d,0x00,0x01,0x02]

v_cvt_f64_i32_e64 v[6:7], exec_lo
// GFX1250: v_cvt_f64_i32_e64 v[6:7], exec_lo       ; encoding: [0x06,0x00,0x84,0xd5,0x7e,0x00,0x01,0x02]

v_cvt_f64_i32_e64 v[6:7], exec_hi
// GFX1250: v_cvt_f64_i32_e64 v[6:7], exec_hi       ; encoding: [0x06,0x00,0x84,0xd5,0x7f,0x00,0x01,0x02]

v_cvt_f64_i32_e64 v[6:7], null
// GFX1250: v_cvt_f64_i32_e64 v[6:7], null          ; encoding: [0x06,0x00,0x84,0xd5,0x7c,0x00,0x01,0x02]

v_cvt_f64_i32_e64 v[6:7], -1
// GFX1250: v_cvt_f64_i32_e64 v[6:7], -1            ; encoding: [0x06,0x00,0x84,0xd5,0xc1,0x00,0x01,0x02]

v_cvt_f64_i32_e64 v[6:7], 0.5 mul:2
// GFX1250: v_cvt_f64_i32_e64 v[6:7], 0.5 mul:2     ; encoding: [0x06,0x00,0x84,0xd5,0xf0,0x00,0x01,0x0a]

v_cvt_f64_i32_e64 v[6:7], src_scc mul:4
// GFX1250: v_cvt_f64_i32_e64 v[6:7], src_scc mul:4 ; encoding: [0x06,0x00,0x84,0xd5,0xfd,0x00,0x01,0x12]

v_cvt_f64_i32_e64 v[254:255], 0xaf123456 clamp div:2
// GFX1250: v_cvt_f64_i32_e64 v[254:255], 0xaf123456 clamp div:2 ; encoding: [0xfe,0x80,0x84,0xd5,0xff,0x00,0x01,0x1a,0x56,0x34,0x12,0xaf]

v_cvt_f64_u32_e64 v[6:7], v1
// GFX1250: v_cvt_f64_u32_e64 v[6:7], v1            ; encoding: [0x06,0x00,0x96,0xd5,0x01,0x01,0x01,0x02]

v_cvt_f64_u32_e64 v[6:7], v255
// GFX1250: v_cvt_f64_u32_e64 v[6:7], v255          ; encoding: [0x06,0x00,0x96,0xd5,0xff,0x01,0x01,0x02]

v_cvt_f64_u32_e64 v[6:7], s1
// GFX1250: v_cvt_f64_u32_e64 v[6:7], s1            ; encoding: [0x06,0x00,0x96,0xd5,0x01,0x00,0x01,0x02]

v_cvt_f64_u32_e64 v[6:7], s105
// GFX1250: v_cvt_f64_u32_e64 v[6:7], s105          ; encoding: [0x06,0x00,0x96,0xd5,0x69,0x00,0x01,0x02]

v_cvt_f64_u32_e64 v[6:7], vcc_lo
// GFX1250: v_cvt_f64_u32_e64 v[6:7], vcc_lo        ; encoding: [0x06,0x00,0x96,0xd5,0x6a,0x00,0x01,0x02]

v_cvt_f64_u32_e64 v[6:7], vcc_hi
// GFX1250: v_cvt_f64_u32_e64 v[6:7], vcc_hi        ; encoding: [0x06,0x00,0x96,0xd5,0x6b,0x00,0x01,0x02]

v_cvt_f64_u32_e64 v[6:7], ttmp15
// GFX1250: v_cvt_f64_u32_e64 v[6:7], ttmp15        ; encoding: [0x06,0x00,0x96,0xd5,0x7b,0x00,0x01,0x02]

v_cvt_f64_u32_e64 v[6:7], m0
// GFX1250: v_cvt_f64_u32_e64 v[6:7], m0            ; encoding: [0x06,0x00,0x96,0xd5,0x7d,0x00,0x01,0x02]

v_cvt_f64_u32_e64 v[6:7], exec_lo
// GFX1250: v_cvt_f64_u32_e64 v[6:7], exec_lo       ; encoding: [0x06,0x00,0x96,0xd5,0x7e,0x00,0x01,0x02]

v_cvt_f64_u32_e64 v[6:7], exec_hi
// GFX1250: v_cvt_f64_u32_e64 v[6:7], exec_hi       ; encoding: [0x06,0x00,0x96,0xd5,0x7f,0x00,0x01,0x02]

v_cvt_f64_u32_e64 v[6:7], null
// GFX1250: v_cvt_f64_u32_e64 v[6:7], null          ; encoding: [0x06,0x00,0x96,0xd5,0x7c,0x00,0x01,0x02]

v_cvt_f64_u32_e64 v[6:7], -1
// GFX1250: v_cvt_f64_u32_e64 v[6:7], -1            ; encoding: [0x06,0x00,0x96,0xd5,0xc1,0x00,0x01,0x02]

v_cvt_f64_u32_e64 v[6:7], 0.5 mul:2
// GFX1250: v_cvt_f64_u32_e64 v[6:7], 0.5 mul:2     ; encoding: [0x06,0x00,0x96,0xd5,0xf0,0x00,0x01,0x0a]

v_cvt_f64_u32_e64 v[6:7], src_scc mul:4
// GFX1250: v_cvt_f64_u32_e64 v[6:7], src_scc mul:4 ; encoding: [0x06,0x00,0x96,0xd5,0xfd,0x00,0x01,0x12]

v_cvt_f64_u32_e64 v[254:255], 0xaf123456 clamp div:2
// GFX1250: v_cvt_f64_u32_e64 v[254:255], 0xaf123456 clamp div:2 ; encoding: [0xfe,0x80,0x96,0xd5,0xff,0x00,0x01,0x1a,0x56,0x34,0x12,0xaf]

v_cvt_floor_i32_f32_e64 v5, v1
// GFX1250: v_cvt_floor_i32_f32_e64 v5, v1          ; encoding: [0x05,0x00,0x8d,0xd5,0x01,0x01,0x01,0x02]

v_cvt_floor_i32_f32_e64 v5, v255
// GFX1250: v_cvt_floor_i32_f32_e64 v5, v255        ; encoding: [0x05,0x00,0x8d,0xd5,0xff,0x01,0x01,0x02]

v_cvt_floor_i32_f32_e64 v5, s1
// GFX1250: v_cvt_floor_i32_f32_e64 v5, s1          ; encoding: [0x05,0x00,0x8d,0xd5,0x01,0x00,0x01,0x02]

v_cvt_floor_i32_f32_e64 v5, s105
// GFX1250: v_cvt_floor_i32_f32_e64 v5, s105        ; encoding: [0x05,0x00,0x8d,0xd5,0x69,0x00,0x01,0x02]

v_cvt_floor_i32_f32_e64 v5, vcc_lo
// GFX1250: v_cvt_floor_i32_f32_e64 v5, vcc_lo      ; encoding: [0x05,0x00,0x8d,0xd5,0x6a,0x00,0x01,0x02]

v_cvt_floor_i32_f32_e64 v5, vcc_hi
// GFX1250: v_cvt_floor_i32_f32_e64 v5, vcc_hi      ; encoding: [0x05,0x00,0x8d,0xd5,0x6b,0x00,0x01,0x02]

v_cvt_floor_i32_f32_e64 v5, ttmp15
// GFX1250: v_cvt_floor_i32_f32_e64 v5, ttmp15      ; encoding: [0x05,0x00,0x8d,0xd5,0x7b,0x00,0x01,0x02]

v_cvt_floor_i32_f32_e64 v5, m0
// GFX1250: v_cvt_floor_i32_f32_e64 v5, m0          ; encoding: [0x05,0x00,0x8d,0xd5,0x7d,0x00,0x01,0x02]

v_cvt_floor_i32_f32_e64 v5, exec_lo
// GFX1250: v_cvt_floor_i32_f32_e64 v5, exec_lo     ; encoding: [0x05,0x00,0x8d,0xd5,0x7e,0x00,0x01,0x02]

v_cvt_floor_i32_f32_e64 v5, exec_hi
// GFX1250: v_cvt_floor_i32_f32_e64 v5, exec_hi     ; encoding: [0x05,0x00,0x8d,0xd5,0x7f,0x00,0x01,0x02]

v_cvt_floor_i32_f32_e64 v5, null
// GFX1250: v_cvt_floor_i32_f32_e64 v5, null        ; encoding: [0x05,0x00,0x8d,0xd5,0x7c,0x00,0x01,0x02]

v_cvt_floor_i32_f32_e64 v5, -1
// GFX1250: v_cvt_floor_i32_f32_e64 v5, -1          ; encoding: [0x05,0x00,0x8d,0xd5,0xc1,0x00,0x01,0x02]

v_cvt_floor_i32_f32_e64 v5, 0.5
// GFX1250: v_cvt_floor_i32_f32_e64 v5, 0.5         ; encoding: [0x05,0x00,0x8d,0xd5,0xf0,0x00,0x01,0x02]

v_cvt_floor_i32_f32_e64 v5, src_scc
// GFX1250: v_cvt_floor_i32_f32_e64 v5, src_scc     ; encoding: [0x05,0x00,0x8d,0xd5,0xfd,0x00,0x01,0x02]

v_cvt_floor_i32_f32_e64 v255, -|0xaf123456|
// GFX1250: v_cvt_floor_i32_f32_e64 v255, -|0xaf123456| ; encoding: [0xff,0x01,0x8d,0xd5,0xff,0x00,0x01,0x22,0x56,0x34,0x12,0xaf]

v_cvt_flr_i32_f32_e64 v5, v1
// GFX1250: v_cvt_floor_i32_f32_e64 v5, v1          ; encoding: [0x05,0x00,0x8d,0xd5,0x01,0x01,0x01,0x02]

v_cvt_flr_i32_f32_e64 v5, v255
// GFX1250: v_cvt_floor_i32_f32_e64 v5, v255        ; encoding: [0x05,0x00,0x8d,0xd5,0xff,0x01,0x01,0x02]

v_cvt_flr_i32_f32_e64 v5, s1
// GFX1250: v_cvt_floor_i32_f32_e64 v5, s1          ; encoding: [0x05,0x00,0x8d,0xd5,0x01,0x00,0x01,0x02]

v_cvt_flr_i32_f32_e64 v5, s105
// GFX1250: v_cvt_floor_i32_f32_e64 v5, s105        ; encoding: [0x05,0x00,0x8d,0xd5,0x69,0x00,0x01,0x02]

v_cvt_flr_i32_f32_e64 v5, vcc_lo
// GFX1250: v_cvt_floor_i32_f32_e64 v5, vcc_lo      ; encoding: [0x05,0x00,0x8d,0xd5,0x6a,0x00,0x01,0x02]

v_cvt_flr_i32_f32_e64 v5, vcc_hi
// GFX1250: v_cvt_floor_i32_f32_e64 v5, vcc_hi      ; encoding: [0x05,0x00,0x8d,0xd5,0x6b,0x00,0x01,0x02]

v_cvt_flr_i32_f32_e64 v5, ttmp15
// GFX1250: v_cvt_floor_i32_f32_e64 v5, ttmp15      ; encoding: [0x05,0x00,0x8d,0xd5,0x7b,0x00,0x01,0x02]

v_cvt_flr_i32_f32_e64 v5, m0
// GFX1250: v_cvt_floor_i32_f32_e64 v5, m0          ; encoding: [0x05,0x00,0x8d,0xd5,0x7d,0x00,0x01,0x02]

v_cvt_flr_i32_f32_e64 v5, exec_lo
// GFX1250: v_cvt_floor_i32_f32_e64 v5, exec_lo     ; encoding: [0x05,0x00,0x8d,0xd5,0x7e,0x00,0x01,0x02]

v_cvt_flr_i32_f32_e64 v5, exec_hi
// GFX1250: v_cvt_floor_i32_f32_e64 v5, exec_hi     ; encoding: [0x05,0x00,0x8d,0xd5,0x7f,0x00,0x01,0x02]

v_cvt_flr_i32_f32_e64 v5, null
// GFX1250: v_cvt_floor_i32_f32_e64 v5, null        ; encoding: [0x05,0x00,0x8d,0xd5,0x7c,0x00,0x01,0x02]

v_cvt_flr_i32_f32_e64 v5, -1
// GFX1250: v_cvt_floor_i32_f32_e64 v5, -1          ; encoding: [0x05,0x00,0x8d,0xd5,0xc1,0x00,0x01,0x02]

v_cvt_flr_i32_f32_e64 v5, 0.5
// GFX1250: v_cvt_floor_i32_f32_e64 v5, 0.5         ; encoding: [0x05,0x00,0x8d,0xd5,0xf0,0x00,0x01,0x02]

v_cvt_flr_i32_f32_e64 v5, src_scc
// GFX1250: v_cvt_floor_i32_f32_e64 v5, src_scc     ; encoding: [0x05,0x00,0x8d,0xd5,0xfd,0x00,0x01,0x02]

v_cvt_flr_i32_f32_e64 v255, -|0xaf123456|
// GFX1250: v_cvt_floor_i32_f32_e64 v255, -|0xaf123456| ; encoding: [0xff,0x01,0x8d,0xd5,0xff,0x00,0x01,0x22,0x56,0x34,0x12,0xaf]

v_cvt_i16_f16_e64 v5, v1
// GFX1250: v_cvt_i16_f16_e64 v5, v1                ; encoding: [0x05,0x00,0xd3,0xd5,0x01,0x01,0x01,0x02]

v_cvt_i16_f16_e64 v5, v255
// GFX1250: v_cvt_i16_f16_e64 v5, v255              ; encoding: [0x05,0x00,0xd3,0xd5,0xff,0x01,0x01,0x02]

v_cvt_i16_f16_e64 v5, s1
// GFX1250: v_cvt_i16_f16_e64 v5, s1                ; encoding: [0x05,0x00,0xd3,0xd5,0x01,0x00,0x01,0x02]

v_cvt_i16_f16_e64 v5, s105
// GFX1250: v_cvt_i16_f16_e64 v5, s105              ; encoding: [0x05,0x00,0xd3,0xd5,0x69,0x00,0x01,0x02]

v_cvt_i16_f16_e64 v5, vcc_lo
// GFX1250: v_cvt_i16_f16_e64 v5, vcc_lo            ; encoding: [0x05,0x00,0xd3,0xd5,0x6a,0x00,0x01,0x02]

v_cvt_i16_f16_e64 v5, vcc_hi
// GFX1250: v_cvt_i16_f16_e64 v5, vcc_hi            ; encoding: [0x05,0x00,0xd3,0xd5,0x6b,0x00,0x01,0x02]

v_cvt_i16_f16_e64 v5, ttmp15
// GFX1250: v_cvt_i16_f16_e64 v5, ttmp15            ; encoding: [0x05,0x00,0xd3,0xd5,0x7b,0x00,0x01,0x02]

v_cvt_i16_f16_e64 v5, m0
// GFX1250: v_cvt_i16_f16_e64 v5, m0                ; encoding: [0x05,0x00,0xd3,0xd5,0x7d,0x00,0x01,0x02]

v_cvt_i16_f16_e64 v5, exec_lo
// GFX1250: v_cvt_i16_f16_e64 v5, exec_lo           ; encoding: [0x05,0x00,0xd3,0xd5,0x7e,0x00,0x01,0x02]

v_cvt_i16_f16_e64 v5, exec_hi
// GFX1250: v_cvt_i16_f16_e64 v5, exec_hi           ; encoding: [0x05,0x00,0xd3,0xd5,0x7f,0x00,0x01,0x02]

v_cvt_i16_f16_e64 v5, null
// GFX1250: v_cvt_i16_f16_e64 v5, null              ; encoding: [0x05,0x00,0xd3,0xd5,0x7c,0x00,0x01,0x02]

v_cvt_i16_f16_e64 v5, -1
// GFX1250: v_cvt_i16_f16_e64 v5, -1                ; encoding: [0x05,0x00,0xd3,0xd5,0xc1,0x00,0x01,0x02]

v_cvt_i16_f16_e64 v5, 0.5
// GFX1250: v_cvt_i16_f16_e64 v5, 0.5               ; encoding: [0x05,0x00,0xd3,0xd5,0xf0,0x00,0x01,0x02]

v_cvt_i16_f16_e64 v5, src_scc
// GFX1250: v_cvt_i16_f16_e64 v5, src_scc           ; encoding: [0x05,0x00,0xd3,0xd5,0xfd,0x00,0x01,0x02]

v_cvt_i16_f16_e64 v255, -|0xfe0b| clamp
// GFX1250: v_cvt_i16_f16_e64 v255, -|0xfe0b| clamp ; encoding: [0xff,0x81,0xd3,0xd5,0xff,0x00,0x01,0x22,0x0b,0xfe,0x00,0x00]

v_cvt_i32_f32_e64 v5, v1
// GFX1250: v_cvt_i32_f32_e64 v5, v1                ; encoding: [0x05,0x00,0x88,0xd5,0x01,0x01,0x01,0x02]

v_cvt_i32_f32_e64 v5, v255
// GFX1250: v_cvt_i32_f32_e64 v5, v255              ; encoding: [0x05,0x00,0x88,0xd5,0xff,0x01,0x01,0x02]

v_cvt_i32_f32_e64 v5, s1
// GFX1250: v_cvt_i32_f32_e64 v5, s1                ; encoding: [0x05,0x00,0x88,0xd5,0x01,0x00,0x01,0x02]

v_cvt_i32_f32_e64 v5, s105
// GFX1250: v_cvt_i32_f32_e64 v5, s105              ; encoding: [0x05,0x00,0x88,0xd5,0x69,0x00,0x01,0x02]

v_cvt_i32_f32_e64 v5, vcc_lo
// GFX1250: v_cvt_i32_f32_e64 v5, vcc_lo            ; encoding: [0x05,0x00,0x88,0xd5,0x6a,0x00,0x01,0x02]

v_cvt_i32_f32_e64 v5, vcc_hi
// GFX1250: v_cvt_i32_f32_e64 v5, vcc_hi            ; encoding: [0x05,0x00,0x88,0xd5,0x6b,0x00,0x01,0x02]

v_cvt_i32_f32_e64 v5, ttmp15
// GFX1250: v_cvt_i32_f32_e64 v5, ttmp15            ; encoding: [0x05,0x00,0x88,0xd5,0x7b,0x00,0x01,0x02]

v_cvt_i32_f32_e64 v5, m0
// GFX1250: v_cvt_i32_f32_e64 v5, m0                ; encoding: [0x05,0x00,0x88,0xd5,0x7d,0x00,0x01,0x02]

v_cvt_i32_f32_e64 v5, exec_lo
// GFX1250: v_cvt_i32_f32_e64 v5, exec_lo           ; encoding: [0x05,0x00,0x88,0xd5,0x7e,0x00,0x01,0x02]

v_cvt_i32_f32_e64 v5, exec_hi
// GFX1250: v_cvt_i32_f32_e64 v5, exec_hi           ; encoding: [0x05,0x00,0x88,0xd5,0x7f,0x00,0x01,0x02]

v_cvt_i32_f32_e64 v5, null
// GFX1250: v_cvt_i32_f32_e64 v5, null              ; encoding: [0x05,0x00,0x88,0xd5,0x7c,0x00,0x01,0x02]

v_cvt_i32_f32_e64 v5, -1
// GFX1250: v_cvt_i32_f32_e64 v5, -1                ; encoding: [0x05,0x00,0x88,0xd5,0xc1,0x00,0x01,0x02]

v_cvt_i32_f32_e64 v5, 0.5
// GFX1250: v_cvt_i32_f32_e64 v5, 0.5               ; encoding: [0x05,0x00,0x88,0xd5,0xf0,0x00,0x01,0x02]

v_cvt_i32_f32_e64 v5, src_scc
// GFX1250: v_cvt_i32_f32_e64 v5, src_scc           ; encoding: [0x05,0x00,0x88,0xd5,0xfd,0x00,0x01,0x02]

v_cvt_i32_f32_e64 v255, -|0xaf123456| clamp
// GFX1250: v_cvt_i32_f32_e64 v255, -|0xaf123456| clamp ; encoding: [0xff,0x81,0x88,0xd5,0xff,0x00,0x01,0x22,0x56,0x34,0x12,0xaf]

v_cvt_i32_f64_e64 v5, v[2:3]
// GFX1250: v_cvt_i32_f64_e64 v5, v[2:3]            ; encoding: [0x05,0x00,0x83,0xd5,0x02,0x01,0x01,0x02]

v_cvt_i32_f64_e64 v5, v[254:255]
// GFX1250: v_cvt_i32_f64_e64 v5, v[254:255]        ; encoding: [0x05,0x00,0x83,0xd5,0xfe,0x01,0x01,0x02]

v_cvt_i32_f64_e64 v5, s[2:3]
// GFX1250: v_cvt_i32_f64_e64 v5, s[2:3]            ; encoding: [0x05,0x00,0x83,0xd5,0x02,0x00,0x01,0x02]

v_cvt_i32_f64_e64 v5, s[104:105]
// GFX1250: v_cvt_i32_f64_e64 v5, s[104:105]        ; encoding: [0x05,0x00,0x83,0xd5,0x68,0x00,0x01,0x02]

v_cvt_i32_f64_e64 v5, vcc
// GFX1250: v_cvt_i32_f64_e64 v5, vcc               ; encoding: [0x05,0x00,0x83,0xd5,0x6a,0x00,0x01,0x02]

v_cvt_i32_f64_e64 v5, ttmp[14:15]
// GFX1250: v_cvt_i32_f64_e64 v5, ttmp[14:15]       ; encoding: [0x05,0x00,0x83,0xd5,0x7a,0x00,0x01,0x02]

v_cvt_i32_f64_e64 v5, exec
// GFX1250: v_cvt_i32_f64_e64 v5, exec              ; encoding: [0x05,0x00,0x83,0xd5,0x7e,0x00,0x01,0x02]

v_cvt_i32_f64_e64 v5, null
// GFX1250: v_cvt_i32_f64_e64 v5, null              ; encoding: [0x05,0x00,0x83,0xd5,0x7c,0x00,0x01,0x02]

v_cvt_i32_f64_e64 v5, -1
// GFX1250: v_cvt_i32_f64_e64 v5, -1                ; encoding: [0x05,0x00,0x83,0xd5,0xc1,0x00,0x01,0x02]

v_cvt_i32_f64_e64 v5, 0.5
// GFX1250: v_cvt_i32_f64_e64 v5, 0.5               ; encoding: [0x05,0x00,0x83,0xd5,0xf0,0x00,0x01,0x02]

v_cvt_i32_f64_e64 v5, -|src_scc|
// GFX1250: v_cvt_i32_f64_e64 v5, -|src_scc|        ; encoding: [0x05,0x01,0x83,0xd5,0xfd,0x00,0x01,0x22]

v_cvt_i32_f64_e64 v255, 0xaf123456 clamp
// GFX1250: v_cvt_i32_f64_e64 v255, 0xaf123456 clamp ; encoding: [0xff,0x80,0x83,0xd5,0xff,0x00,0x01,0x02,0x56,0x34,0x12,0xaf]

v_cvt_i32_i16_e64 v5, v1
// GFX1250: v_cvt_i32_i16_e64 v5, v1                ; encoding: [0x05,0x00,0xea,0xd5,0x01,0x01,0x01,0x02]

v_cvt_i32_i16_e64 v5, v255
// GFX1250: v_cvt_i32_i16_e64 v5, v255              ; encoding: [0x05,0x00,0xea,0xd5,0xff,0x01,0x01,0x02]

v_cvt_i32_i16_e64 v5, s1
// GFX1250: v_cvt_i32_i16_e64 v5, s1                ; encoding: [0x05,0x00,0xea,0xd5,0x01,0x00,0x01,0x02]

v_cvt_i32_i16_e64 v5, s105
// GFX1250: v_cvt_i32_i16_e64 v5, s105              ; encoding: [0x05,0x00,0xea,0xd5,0x69,0x00,0x01,0x02]

v_cvt_i32_i16_e64 v5, vcc_lo
// GFX1250: v_cvt_i32_i16_e64 v5, vcc_lo            ; encoding: [0x05,0x00,0xea,0xd5,0x6a,0x00,0x01,0x02]

v_cvt_i32_i16_e64 v5, vcc_hi
// GFX1250: v_cvt_i32_i16_e64 v5, vcc_hi            ; encoding: [0x05,0x00,0xea,0xd5,0x6b,0x00,0x01,0x02]

v_cvt_i32_i16_e64 v5, ttmp15
// GFX1250: v_cvt_i32_i16_e64 v5, ttmp15            ; encoding: [0x05,0x00,0xea,0xd5,0x7b,0x00,0x01,0x02]

v_cvt_i32_i16_e64 v5, m0
// GFX1250: v_cvt_i32_i16_e64 v5, m0                ; encoding: [0x05,0x00,0xea,0xd5,0x7d,0x00,0x01,0x02]

v_cvt_i32_i16_e64 v5, exec_lo
// GFX1250: v_cvt_i32_i16_e64 v5, exec_lo           ; encoding: [0x05,0x00,0xea,0xd5,0x7e,0x00,0x01,0x02]

v_cvt_i32_i16_e64 v5, exec_hi
// GFX1250: v_cvt_i32_i16_e64 v5, exec_hi           ; encoding: [0x05,0x00,0xea,0xd5,0x7f,0x00,0x01,0x02]

v_cvt_i32_i16_e64 v5, null
// GFX1250: v_cvt_i32_i16_e64 v5, null              ; encoding: [0x05,0x00,0xea,0xd5,0x7c,0x00,0x01,0x02]

v_cvt_i32_i16_e64 v5, -1
// GFX1250: v_cvt_i32_i16_e64 v5, -1                ; encoding: [0x05,0x00,0xea,0xd5,0xc1,0x00,0x01,0x02]

v_cvt_i32_i16_e64 v5, 0.5
// GFX1250: v_cvt_i32_i16_e64 v5, 0.5               ; encoding: [0x05,0x00,0xea,0xd5,0xf0,0x00,0x01,0x02]

v_cvt_i32_i16_e64 v5, src_scc
// GFX1250: v_cvt_i32_i16_e64 v5, src_scc           ; encoding: [0x05,0x00,0xea,0xd5,0xfd,0x00,0x01,0x02]

v_cvt_i32_i16_e64 v255, 0xfe0b
// GFX1250: v_cvt_i32_i16_e64 v255, 0xfe0b          ; encoding: [0xff,0x00,0xea,0xd5,0xff,0x00,0x01,0x02,0x0b,0xfe,0x00,0x00]

v_cvt_nearest_i32_f32_e64 v5, v1
// GFX1250: v_cvt_nearest_i32_f32_e64 v5, v1        ; encoding: [0x05,0x00,0x8c,0xd5,0x01,0x01,0x01,0x02]

v_cvt_nearest_i32_f32_e64 v5, v255
// GFX1250: v_cvt_nearest_i32_f32_e64 v5, v255      ; encoding: [0x05,0x00,0x8c,0xd5,0xff,0x01,0x01,0x02]

v_cvt_nearest_i32_f32_e64 v5, s1
// GFX1250: v_cvt_nearest_i32_f32_e64 v5, s1        ; encoding: [0x05,0x00,0x8c,0xd5,0x01,0x00,0x01,0x02]

v_cvt_nearest_i32_f32_e64 v5, s105
// GFX1250: v_cvt_nearest_i32_f32_e64 v5, s105      ; encoding: [0x05,0x00,0x8c,0xd5,0x69,0x00,0x01,0x02]

v_cvt_nearest_i32_f32_e64 v5, vcc_lo
// GFX1250: v_cvt_nearest_i32_f32_e64 v5, vcc_lo    ; encoding: [0x05,0x00,0x8c,0xd5,0x6a,0x00,0x01,0x02]

v_cvt_nearest_i32_f32_e64 v5, vcc_hi
// GFX1250: v_cvt_nearest_i32_f32_e64 v5, vcc_hi    ; encoding: [0x05,0x00,0x8c,0xd5,0x6b,0x00,0x01,0x02]

v_cvt_nearest_i32_f32_e64 v5, ttmp15
// GFX1250: v_cvt_nearest_i32_f32_e64 v5, ttmp15    ; encoding: [0x05,0x00,0x8c,0xd5,0x7b,0x00,0x01,0x02]

v_cvt_nearest_i32_f32_e64 v5, m0
// GFX1250: v_cvt_nearest_i32_f32_e64 v5, m0        ; encoding: [0x05,0x00,0x8c,0xd5,0x7d,0x00,0x01,0x02]

v_cvt_nearest_i32_f32_e64 v5, exec_lo
// GFX1250: v_cvt_nearest_i32_f32_e64 v5, exec_lo   ; encoding: [0x05,0x00,0x8c,0xd5,0x7e,0x00,0x01,0x02]

v_cvt_nearest_i32_f32_e64 v5, exec_hi
// GFX1250: v_cvt_nearest_i32_f32_e64 v5, exec_hi   ; encoding: [0x05,0x00,0x8c,0xd5,0x7f,0x00,0x01,0x02]

v_cvt_nearest_i32_f32_e64 v5, null
// GFX1250: v_cvt_nearest_i32_f32_e64 v5, null      ; encoding: [0x05,0x00,0x8c,0xd5,0x7c,0x00,0x01,0x02]

v_cvt_nearest_i32_f32_e64 v5, -1
// GFX1250: v_cvt_nearest_i32_f32_e64 v5, -1        ; encoding: [0x05,0x00,0x8c,0xd5,0xc1,0x00,0x01,0x02]

v_cvt_nearest_i32_f32_e64 v5, 0.5
// GFX1250: v_cvt_nearest_i32_f32_e64 v5, 0.5       ; encoding: [0x05,0x00,0x8c,0xd5,0xf0,0x00,0x01,0x02]

v_cvt_nearest_i32_f32_e64 v5, src_scc
// GFX1250: v_cvt_nearest_i32_f32_e64 v5, src_scc   ; encoding: [0x05,0x00,0x8c,0xd5,0xfd,0x00,0x01,0x02]

v_cvt_nearest_i32_f32_e64 v255, -|0xaf123456|
// GFX1250: v_cvt_nearest_i32_f32_e64 v255, -|0xaf123456| ; encoding: [0xff,0x01,0x8c,0xd5,0xff,0x00,0x01,0x22,0x56,0x34,0x12,0xaf]

v_cvt_norm_i16_f16_e64 v5, v1
// GFX1250: v_cvt_norm_i16_f16_e64 v5, v1           ; encoding: [0x05,0x00,0xe3,0xd5,0x01,0x01,0x01,0x02]

v_cvt_norm_i16_f16_e64 v5, v255
// GFX1250: v_cvt_norm_i16_f16_e64 v5, v255         ; encoding: [0x05,0x00,0xe3,0xd5,0xff,0x01,0x01,0x02]

v_cvt_norm_i16_f16_e64 v5, s1
// GFX1250: v_cvt_norm_i16_f16_e64 v5, s1           ; encoding: [0x05,0x00,0xe3,0xd5,0x01,0x00,0x01,0x02]

v_cvt_norm_i16_f16_e64 v5, s105
// GFX1250: v_cvt_norm_i16_f16_e64 v5, s105         ; encoding: [0x05,0x00,0xe3,0xd5,0x69,0x00,0x01,0x02]

v_cvt_norm_i16_f16_e64 v5, vcc_lo
// GFX1250: v_cvt_norm_i16_f16_e64 v5, vcc_lo       ; encoding: [0x05,0x00,0xe3,0xd5,0x6a,0x00,0x01,0x02]

v_cvt_norm_i16_f16_e64 v5, vcc_hi
// GFX1250: v_cvt_norm_i16_f16_e64 v5, vcc_hi       ; encoding: [0x05,0x00,0xe3,0xd5,0x6b,0x00,0x01,0x02]

v_cvt_norm_i16_f16_e64 v5, ttmp15
// GFX1250: v_cvt_norm_i16_f16_e64 v5, ttmp15       ; encoding: [0x05,0x00,0xe3,0xd5,0x7b,0x00,0x01,0x02]

v_cvt_norm_i16_f16_e64 v5, m0
// GFX1250: v_cvt_norm_i16_f16_e64 v5, m0           ; encoding: [0x05,0x00,0xe3,0xd5,0x7d,0x00,0x01,0x02]

v_cvt_norm_i16_f16_e64 v5, exec_lo
// GFX1250: v_cvt_norm_i16_f16_e64 v5, exec_lo      ; encoding: [0x05,0x00,0xe3,0xd5,0x7e,0x00,0x01,0x02]

v_cvt_norm_i16_f16_e64 v5, exec_hi
// GFX1250: v_cvt_norm_i16_f16_e64 v5, exec_hi      ; encoding: [0x05,0x00,0xe3,0xd5,0x7f,0x00,0x01,0x02]

v_cvt_norm_i16_f16_e64 v5, null
// GFX1250: v_cvt_norm_i16_f16_e64 v5, null         ; encoding: [0x05,0x00,0xe3,0xd5,0x7c,0x00,0x01,0x02]

v_cvt_norm_i16_f16_e64 v5, -1
// GFX1250: v_cvt_norm_i16_f16_e64 v5, -1           ; encoding: [0x05,0x00,0xe3,0xd5,0xc1,0x00,0x01,0x02]

v_cvt_norm_i16_f16_e64 v5, 0.5
// GFX1250: v_cvt_norm_i16_f16_e64 v5, 0.5          ; encoding: [0x05,0x00,0xe3,0xd5,0xf0,0x00,0x01,0x02]

v_cvt_norm_i16_f16_e64 v5, src_scc
// GFX1250: v_cvt_norm_i16_f16_e64 v5, src_scc      ; encoding: [0x05,0x00,0xe3,0xd5,0xfd,0x00,0x01,0x02]

v_cvt_norm_i16_f16_e64 v255, -|0xfe0b|
// GFX1250: v_cvt_norm_i16_f16_e64 v255, -|0xfe0b|  ; encoding: [0xff,0x01,0xe3,0xd5,0xff,0x00,0x01,0x22,0x0b,0xfe,0x00,0x00]

v_cvt_norm_u16_f16_e64 v5, v1
// GFX1250: v_cvt_norm_u16_f16_e64 v5, v1           ; encoding: [0x05,0x00,0xe4,0xd5,0x01,0x01,0x01,0x02]

v_cvt_norm_u16_f16_e64 v5, v255
// GFX1250: v_cvt_norm_u16_f16_e64 v5, v255         ; encoding: [0x05,0x00,0xe4,0xd5,0xff,0x01,0x01,0x02]

v_cvt_norm_u16_f16_e64 v5, s1
// GFX1250: v_cvt_norm_u16_f16_e64 v5, s1           ; encoding: [0x05,0x00,0xe4,0xd5,0x01,0x00,0x01,0x02]

v_cvt_norm_u16_f16_e64 v5, s105
// GFX1250: v_cvt_norm_u16_f16_e64 v5, s105         ; encoding: [0x05,0x00,0xe4,0xd5,0x69,0x00,0x01,0x02]

v_cvt_norm_u16_f16_e64 v5, vcc_lo
// GFX1250: v_cvt_norm_u16_f16_e64 v5, vcc_lo       ; encoding: [0x05,0x00,0xe4,0xd5,0x6a,0x00,0x01,0x02]

v_cvt_norm_u16_f16_e64 v5, vcc_hi
// GFX1250: v_cvt_norm_u16_f16_e64 v5, vcc_hi       ; encoding: [0x05,0x00,0xe4,0xd5,0x6b,0x00,0x01,0x02]

v_cvt_norm_u16_f16_e64 v5, ttmp15
// GFX1250: v_cvt_norm_u16_f16_e64 v5, ttmp15       ; encoding: [0x05,0x00,0xe4,0xd5,0x7b,0x00,0x01,0x02]

v_cvt_norm_u16_f16_e64 v5, m0
// GFX1250: v_cvt_norm_u16_f16_e64 v5, m0           ; encoding: [0x05,0x00,0xe4,0xd5,0x7d,0x00,0x01,0x02]

v_cvt_norm_u16_f16_e64 v5, exec_lo
// GFX1250: v_cvt_norm_u16_f16_e64 v5, exec_lo      ; encoding: [0x05,0x00,0xe4,0xd5,0x7e,0x00,0x01,0x02]

v_cvt_norm_u16_f16_e64 v5, exec_hi
// GFX1250: v_cvt_norm_u16_f16_e64 v5, exec_hi      ; encoding: [0x05,0x00,0xe4,0xd5,0x7f,0x00,0x01,0x02]

v_cvt_norm_u16_f16_e64 v5, null
// GFX1250: v_cvt_norm_u16_f16_e64 v5, null         ; encoding: [0x05,0x00,0xe4,0xd5,0x7c,0x00,0x01,0x02]

v_cvt_norm_u16_f16_e64 v5, -1
// GFX1250: v_cvt_norm_u16_f16_e64 v5, -1           ; encoding: [0x05,0x00,0xe4,0xd5,0xc1,0x00,0x01,0x02]

v_cvt_norm_u16_f16_e64 v5, 0.5
// GFX1250: v_cvt_norm_u16_f16_e64 v5, 0.5          ; encoding: [0x05,0x00,0xe4,0xd5,0xf0,0x00,0x01,0x02]

v_cvt_norm_u16_f16_e64 v5, src_scc
// GFX1250: v_cvt_norm_u16_f16_e64 v5, src_scc      ; encoding: [0x05,0x00,0xe4,0xd5,0xfd,0x00,0x01,0x02]

v_cvt_norm_u16_f16_e64 v255, -|0xfe0b|
// GFX1250: v_cvt_norm_u16_f16_e64 v255, -|0xfe0b|  ; encoding: [0xff,0x01,0xe4,0xd5,0xff,0x00,0x01,0x22,0x0b,0xfe,0x00,0x00]

v_cvt_off_f32_i4_e64 v5, v1
// GFX1250: v_cvt_off_f32_i4_e64 v5, v1             ; encoding: [0x05,0x00,0x8e,0xd5,0x01,0x01,0x01,0x02]

v_cvt_off_f32_i4_e64 v5, v255
// GFX1250: v_cvt_off_f32_i4_e64 v5, v255           ; encoding: [0x05,0x00,0x8e,0xd5,0xff,0x01,0x01,0x02]

v_cvt_off_f32_i4_e64 v5, s1
// GFX1250: v_cvt_off_f32_i4_e64 v5, s1             ; encoding: [0x05,0x00,0x8e,0xd5,0x01,0x00,0x01,0x02]

v_cvt_off_f32_i4_e64 v5, s105
// GFX1250: v_cvt_off_f32_i4_e64 v5, s105           ; encoding: [0x05,0x00,0x8e,0xd5,0x69,0x00,0x01,0x02]

v_cvt_off_f32_i4_e64 v5, vcc_lo
// GFX1250: v_cvt_off_f32_i4_e64 v5, vcc_lo         ; encoding: [0x05,0x00,0x8e,0xd5,0x6a,0x00,0x01,0x02]

v_cvt_off_f32_i4_e64 v5, vcc_hi
// GFX1250: v_cvt_off_f32_i4_e64 v5, vcc_hi         ; encoding: [0x05,0x00,0x8e,0xd5,0x6b,0x00,0x01,0x02]

v_cvt_off_f32_i4_e64 v5, ttmp15
// GFX1250: v_cvt_off_f32_i4_e64 v5, ttmp15         ; encoding: [0x05,0x00,0x8e,0xd5,0x7b,0x00,0x01,0x02]

v_cvt_off_f32_i4_e64 v5, m0
// GFX1250: v_cvt_off_f32_i4_e64 v5, m0             ; encoding: [0x05,0x00,0x8e,0xd5,0x7d,0x00,0x01,0x02]

v_cvt_off_f32_i4_e64 v5, exec_lo
// GFX1250: v_cvt_off_f32_i4_e64 v5, exec_lo        ; encoding: [0x05,0x00,0x8e,0xd5,0x7e,0x00,0x01,0x02]

v_cvt_off_f32_i4_e64 v5, exec_hi
// GFX1250: v_cvt_off_f32_i4_e64 v5, exec_hi        ; encoding: [0x05,0x00,0x8e,0xd5,0x7f,0x00,0x01,0x02]

v_cvt_off_f32_i4_e64 v5, null
// GFX1250: v_cvt_off_f32_i4_e64 v5, null           ; encoding: [0x05,0x00,0x8e,0xd5,0x7c,0x00,0x01,0x02]

v_cvt_off_f32_i4_e64 v5, -1
// GFX1250: v_cvt_off_f32_i4_e64 v5, -1             ; encoding: [0x05,0x00,0x8e,0xd5,0xc1,0x00,0x01,0x02]

v_cvt_off_f32_i4_e64 v5, 0.5 mul:2
// GFX1250: v_cvt_off_f32_i4_e64 v5, 0.5 mul:2      ; encoding: [0x05,0x00,0x8e,0xd5,0xf0,0x00,0x01,0x0a]

v_cvt_off_f32_i4_e64 v5, src_scc mul:4
// GFX1250: v_cvt_off_f32_i4_e64 v5, src_scc mul:4  ; encoding: [0x05,0x00,0x8e,0xd5,0xfd,0x00,0x01,0x12]

v_cvt_off_f32_i4_e64 v255, 0x4f clamp div:2
// GFX1250: v_cvt_off_f32_i4_e64 v255, 0x4f clamp div:2 ; encoding: [0xff,0x80,0x8e,0xd5,0xff,0x00,0x01,0x1a,0x4f,0x00,0x00,0x00]

v_cvt_rpi_i32_f32_e64 v5, v1
// GFX1250: v_cvt_nearest_i32_f32_e64 v5, v1        ; encoding: [0x05,0x00,0x8c,0xd5,0x01,0x01,0x01,0x02]

v_cvt_rpi_i32_f32_e64 v5, v255
// GFX1250: v_cvt_nearest_i32_f32_e64 v5, v255      ; encoding: [0x05,0x00,0x8c,0xd5,0xff,0x01,0x01,0x02]

v_cvt_rpi_i32_f32_e64 v5, s1
// GFX1250: v_cvt_nearest_i32_f32_e64 v5, s1        ; encoding: [0x05,0x00,0x8c,0xd5,0x01,0x00,0x01,0x02]

v_cvt_rpi_i32_f32_e64 v5, s105
// GFX1250: v_cvt_nearest_i32_f32_e64 v5, s105      ; encoding: [0x05,0x00,0x8c,0xd5,0x69,0x00,0x01,0x02]

v_cvt_rpi_i32_f32_e64 v5, vcc_lo
// GFX1250: v_cvt_nearest_i32_f32_e64 v5, vcc_lo    ; encoding: [0x05,0x00,0x8c,0xd5,0x6a,0x00,0x01,0x02]

v_cvt_rpi_i32_f32_e64 v5, vcc_hi
// GFX1250: v_cvt_nearest_i32_f32_e64 v5, vcc_hi    ; encoding: [0x05,0x00,0x8c,0xd5,0x6b,0x00,0x01,0x02]

v_cvt_rpi_i32_f32_e64 v5, ttmp15
// GFX1250: v_cvt_nearest_i32_f32_e64 v5, ttmp15    ; encoding: [0x05,0x00,0x8c,0xd5,0x7b,0x00,0x01,0x02]

v_cvt_rpi_i32_f32_e64 v5, m0
// GFX1250: v_cvt_nearest_i32_f32_e64 v5, m0        ; encoding: [0x05,0x00,0x8c,0xd5,0x7d,0x00,0x01,0x02]

v_cvt_rpi_i32_f32_e64 v5, exec_lo
// GFX1250: v_cvt_nearest_i32_f32_e64 v5, exec_lo   ; encoding: [0x05,0x00,0x8c,0xd5,0x7e,0x00,0x01,0x02]

v_cvt_rpi_i32_f32_e64 v5, exec_hi
// GFX1250: v_cvt_nearest_i32_f32_e64 v5, exec_hi   ; encoding: [0x05,0x00,0x8c,0xd5,0x7f,0x00,0x01,0x02]

v_cvt_rpi_i32_f32_e64 v5, null
// GFX1250: v_cvt_nearest_i32_f32_e64 v5, null      ; encoding: [0x05,0x00,0x8c,0xd5,0x7c,0x00,0x01,0x02]

v_cvt_rpi_i32_f32_e64 v5, -1
// GFX1250: v_cvt_nearest_i32_f32_e64 v5, -1        ; encoding: [0x05,0x00,0x8c,0xd5,0xc1,0x00,0x01,0x02]

v_cvt_rpi_i32_f32_e64 v5, 0.5
// GFX1250: v_cvt_nearest_i32_f32_e64 v5, 0.5       ; encoding: [0x05,0x00,0x8c,0xd5,0xf0,0x00,0x01,0x02]

v_cvt_rpi_i32_f32_e64 v5, src_scc
// GFX1250: v_cvt_nearest_i32_f32_e64 v5, src_scc   ; encoding: [0x05,0x00,0x8c,0xd5,0xfd,0x00,0x01,0x02]

v_cvt_rpi_i32_f32_e64 v255, -|0xaf123456|
// GFX1250: v_cvt_nearest_i32_f32_e64 v255, -|0xaf123456| ; encoding: [0xff,0x01,0x8c,0xd5,0xff,0x00,0x01,0x22,0x56,0x34,0x12,0xaf]

v_cvt_u16_f16_e64 v5, v1
// GFX1250: v_cvt_u16_f16_e64 v5, v1                ; encoding: [0x05,0x00,0xd2,0xd5,0x01,0x01,0x01,0x02]

v_cvt_u16_f16_e64 v5, v255
// GFX1250: v_cvt_u16_f16_e64 v5, v255              ; encoding: [0x05,0x00,0xd2,0xd5,0xff,0x01,0x01,0x02]

v_cvt_u16_f16_e64 v5, s1
// GFX1250: v_cvt_u16_f16_e64 v5, s1                ; encoding: [0x05,0x00,0xd2,0xd5,0x01,0x00,0x01,0x02]

v_cvt_u16_f16_e64 v5, s105
// GFX1250: v_cvt_u16_f16_e64 v5, s105              ; encoding: [0x05,0x00,0xd2,0xd5,0x69,0x00,0x01,0x02]

v_cvt_u16_f16_e64 v5, vcc_lo
// GFX1250: v_cvt_u16_f16_e64 v5, vcc_lo            ; encoding: [0x05,0x00,0xd2,0xd5,0x6a,0x00,0x01,0x02]

v_cvt_u16_f16_e64 v5, vcc_hi
// GFX1250: v_cvt_u16_f16_e64 v5, vcc_hi            ; encoding: [0x05,0x00,0xd2,0xd5,0x6b,0x00,0x01,0x02]

v_cvt_u16_f16_e64 v5, ttmp15
// GFX1250: v_cvt_u16_f16_e64 v5, ttmp15            ; encoding: [0x05,0x00,0xd2,0xd5,0x7b,0x00,0x01,0x02]

v_cvt_u16_f16_e64 v5, m0
// GFX1250: v_cvt_u16_f16_e64 v5, m0                ; encoding: [0x05,0x00,0xd2,0xd5,0x7d,0x00,0x01,0x02]

v_cvt_u16_f16_e64 v5, exec_lo
// GFX1250: v_cvt_u16_f16_e64 v5, exec_lo           ; encoding: [0x05,0x00,0xd2,0xd5,0x7e,0x00,0x01,0x02]

v_cvt_u16_f16_e64 v5, exec_hi
// GFX1250: v_cvt_u16_f16_e64 v5, exec_hi           ; encoding: [0x05,0x00,0xd2,0xd5,0x7f,0x00,0x01,0x02]

v_cvt_u16_f16_e64 v5, null
// GFX1250: v_cvt_u16_f16_e64 v5, null              ; encoding: [0x05,0x00,0xd2,0xd5,0x7c,0x00,0x01,0x02]

v_cvt_u16_f16_e64 v5, -1
// GFX1250: v_cvt_u16_f16_e64 v5, -1                ; encoding: [0x05,0x00,0xd2,0xd5,0xc1,0x00,0x01,0x02]

v_cvt_u16_f16_e64 v5, 0.5
// GFX1250: v_cvt_u16_f16_e64 v5, 0.5               ; encoding: [0x05,0x00,0xd2,0xd5,0xf0,0x00,0x01,0x02]

v_cvt_u16_f16_e64 v5, src_scc
// GFX1250: v_cvt_u16_f16_e64 v5, src_scc           ; encoding: [0x05,0x00,0xd2,0xd5,0xfd,0x00,0x01,0x02]

v_cvt_u16_f16_e64 v255, -|0xfe0b| clamp
// GFX1250: v_cvt_u16_f16_e64 v255, -|0xfe0b| clamp ; encoding: [0xff,0x81,0xd2,0xd5,0xff,0x00,0x01,0x22,0x0b,0xfe,0x00,0x00]

v_cvt_u32_f32_e64 v5, v1
// GFX1250: v_cvt_u32_f32_e64 v5, v1                ; encoding: [0x05,0x00,0x87,0xd5,0x01,0x01,0x01,0x02]

v_cvt_u32_f32_e64 v5, v255
// GFX1250: v_cvt_u32_f32_e64 v5, v255              ; encoding: [0x05,0x00,0x87,0xd5,0xff,0x01,0x01,0x02]

v_cvt_u32_f32_e64 v5, s1
// GFX1250: v_cvt_u32_f32_e64 v5, s1                ; encoding: [0x05,0x00,0x87,0xd5,0x01,0x00,0x01,0x02]

v_cvt_u32_f32_e64 v5, s105
// GFX1250: v_cvt_u32_f32_e64 v5, s105              ; encoding: [0x05,0x00,0x87,0xd5,0x69,0x00,0x01,0x02]

v_cvt_u32_f32_e64 v5, vcc_lo
// GFX1250: v_cvt_u32_f32_e64 v5, vcc_lo            ; encoding: [0x05,0x00,0x87,0xd5,0x6a,0x00,0x01,0x02]

v_cvt_u32_f32_e64 v5, vcc_hi
// GFX1250: v_cvt_u32_f32_e64 v5, vcc_hi            ; encoding: [0x05,0x00,0x87,0xd5,0x6b,0x00,0x01,0x02]

v_cvt_u32_f32_e64 v5, ttmp15
// GFX1250: v_cvt_u32_f32_e64 v5, ttmp15            ; encoding: [0x05,0x00,0x87,0xd5,0x7b,0x00,0x01,0x02]

v_cvt_u32_f32_e64 v5, m0
// GFX1250: v_cvt_u32_f32_e64 v5, m0                ; encoding: [0x05,0x00,0x87,0xd5,0x7d,0x00,0x01,0x02]

v_cvt_u32_f32_e64 v5, exec_lo
// GFX1250: v_cvt_u32_f32_e64 v5, exec_lo           ; encoding: [0x05,0x00,0x87,0xd5,0x7e,0x00,0x01,0x02]

v_cvt_u32_f32_e64 v5, exec_hi
// GFX1250: v_cvt_u32_f32_e64 v5, exec_hi           ; encoding: [0x05,0x00,0x87,0xd5,0x7f,0x00,0x01,0x02]

v_cvt_u32_f32_e64 v5, null
// GFX1250: v_cvt_u32_f32_e64 v5, null              ; encoding: [0x05,0x00,0x87,0xd5,0x7c,0x00,0x01,0x02]

v_cvt_u32_f32_e64 v5, -1
// GFX1250: v_cvt_u32_f32_e64 v5, -1                ; encoding: [0x05,0x00,0x87,0xd5,0xc1,0x00,0x01,0x02]

v_cvt_u32_f32_e64 v5, 0.5
// GFX1250: v_cvt_u32_f32_e64 v5, 0.5               ; encoding: [0x05,0x00,0x87,0xd5,0xf0,0x00,0x01,0x02]

v_cvt_u32_f32_e64 v5, src_scc
// GFX1250: v_cvt_u32_f32_e64 v5, src_scc           ; encoding: [0x05,0x00,0x87,0xd5,0xfd,0x00,0x01,0x02]

v_cvt_u32_f32_e64 v255, -|0xaf123456| clamp
// GFX1250: v_cvt_u32_f32_e64 v255, -|0xaf123456| clamp ; encoding: [0xff,0x81,0x87,0xd5,0xff,0x00,0x01,0x22,0x56,0x34,0x12,0xaf]

v_cvt_u32_f64_e64 v5, v[2:3]
// GFX1250: v_cvt_u32_f64_e64 v5, v[2:3]            ; encoding: [0x05,0x00,0x95,0xd5,0x02,0x01,0x01,0x02]

v_cvt_u32_f64_e64 v5, v[254:255]
// GFX1250: v_cvt_u32_f64_e64 v5, v[254:255]        ; encoding: [0x05,0x00,0x95,0xd5,0xfe,0x01,0x01,0x02]

v_cvt_u32_f64_e64 v5, s[2:3]
// GFX1250: v_cvt_u32_f64_e64 v5, s[2:3]            ; encoding: [0x05,0x00,0x95,0xd5,0x02,0x00,0x01,0x02]

v_cvt_u32_f64_e64 v5, s[104:105]
// GFX1250: v_cvt_u32_f64_e64 v5, s[104:105]        ; encoding: [0x05,0x00,0x95,0xd5,0x68,0x00,0x01,0x02]

v_cvt_u32_f64_e64 v5, vcc
// GFX1250: v_cvt_u32_f64_e64 v5, vcc               ; encoding: [0x05,0x00,0x95,0xd5,0x6a,0x00,0x01,0x02]

v_cvt_u32_f64_e64 v5, ttmp[14:15]
// GFX1250: v_cvt_u32_f64_e64 v5, ttmp[14:15]       ; encoding: [0x05,0x00,0x95,0xd5,0x7a,0x00,0x01,0x02]

v_cvt_u32_f64_e64 v5, exec
// GFX1250: v_cvt_u32_f64_e64 v5, exec              ; encoding: [0x05,0x00,0x95,0xd5,0x7e,0x00,0x01,0x02]

v_cvt_u32_f64_e64 v5, null
// GFX1250: v_cvt_u32_f64_e64 v5, null              ; encoding: [0x05,0x00,0x95,0xd5,0x7c,0x00,0x01,0x02]

v_cvt_u32_f64_e64 v5, -1
// GFX1250: v_cvt_u32_f64_e64 v5, -1                ; encoding: [0x05,0x00,0x95,0xd5,0xc1,0x00,0x01,0x02]

v_cvt_u32_f64_e64 v5, 0.5
// GFX1250: v_cvt_u32_f64_e64 v5, 0.5               ; encoding: [0x05,0x00,0x95,0xd5,0xf0,0x00,0x01,0x02]

v_cvt_u32_f64_e64 v5, -|src_scc|
// GFX1250: v_cvt_u32_f64_e64 v5, -|src_scc|        ; encoding: [0x05,0x01,0x95,0xd5,0xfd,0x00,0x01,0x22]

v_cvt_u32_f64_e64 v255, 0xaf123456 clamp
// GFX1250: v_cvt_u32_f64_e64 v255, 0xaf123456 clamp ; encoding: [0xff,0x80,0x95,0xd5,0xff,0x00,0x01,0x02,0x56,0x34,0x12,0xaf]

v_cvt_u32_u16_e64 v5, v1
// GFX1250: v_cvt_u32_u16_e64 v5, v1                ; encoding: [0x05,0x00,0xeb,0xd5,0x01,0x01,0x01,0x02]

v_cvt_u32_u16_e64 v5, v255
// GFX1250: v_cvt_u32_u16_e64 v5, v255              ; encoding: [0x05,0x00,0xeb,0xd5,0xff,0x01,0x01,0x02]

v_cvt_u32_u16_e64 v5, s1
// GFX1250: v_cvt_u32_u16_e64 v5, s1                ; encoding: [0x05,0x00,0xeb,0xd5,0x01,0x00,0x01,0x02]

v_cvt_u32_u16_e64 v5, s105
// GFX1250: v_cvt_u32_u16_e64 v5, s105              ; encoding: [0x05,0x00,0xeb,0xd5,0x69,0x00,0x01,0x02]

v_cvt_u32_u16_e64 v5, vcc_lo
// GFX1250: v_cvt_u32_u16_e64 v5, vcc_lo            ; encoding: [0x05,0x00,0xeb,0xd5,0x6a,0x00,0x01,0x02]

v_cvt_u32_u16_e64 v5, vcc_hi
// GFX1250: v_cvt_u32_u16_e64 v5, vcc_hi            ; encoding: [0x05,0x00,0xeb,0xd5,0x6b,0x00,0x01,0x02]

v_cvt_u32_u16_e64 v5, ttmp15
// GFX1250: v_cvt_u32_u16_e64 v5, ttmp15            ; encoding: [0x05,0x00,0xeb,0xd5,0x7b,0x00,0x01,0x02]

v_cvt_u32_u16_e64 v5, m0
// GFX1250: v_cvt_u32_u16_e64 v5, m0                ; encoding: [0x05,0x00,0xeb,0xd5,0x7d,0x00,0x01,0x02]

v_cvt_u32_u16_e64 v5, exec_lo
// GFX1250: v_cvt_u32_u16_e64 v5, exec_lo           ; encoding: [0x05,0x00,0xeb,0xd5,0x7e,0x00,0x01,0x02]

v_cvt_u32_u16_e64 v5, exec_hi
// GFX1250: v_cvt_u32_u16_e64 v5, exec_hi           ; encoding: [0x05,0x00,0xeb,0xd5,0x7f,0x00,0x01,0x02]

v_cvt_u32_u16_e64 v5, null
// GFX1250: v_cvt_u32_u16_e64 v5, null              ; encoding: [0x05,0x00,0xeb,0xd5,0x7c,0x00,0x01,0x02]

v_cvt_u32_u16_e64 v5, -1
// GFX1250: v_cvt_u32_u16_e64 v5, -1                ; encoding: [0x05,0x00,0xeb,0xd5,0xc1,0x00,0x01,0x02]

v_cvt_u32_u16_e64 v5, 0.5
// GFX1250: v_cvt_u32_u16_e64 v5, 0.5               ; encoding: [0x05,0x00,0xeb,0xd5,0xf0,0x00,0x01,0x02]

v_cvt_u32_u16_e64 v5, src_scc
// GFX1250: v_cvt_u32_u16_e64 v5, src_scc           ; encoding: [0x05,0x00,0xeb,0xd5,0xfd,0x00,0x01,0x02]

v_cvt_u32_u16_e64 v255, 0xfe0b
// GFX1250: v_cvt_u32_u16_e64 v255, 0xfe0b          ; encoding: [0xff,0x00,0xeb,0xd5,0xff,0x00,0x01,0x02,0x0b,0xfe,0x00,0x00]

v_exp_f16_e64 v5, v1
// GFX1250: v_exp_f16_e64 v5, v1                    ; encoding: [0x05,0x00,0xd8,0xd5,0x01,0x01,0x01,0x02]

v_exp_f16_e64 v5, v255
// GFX1250: v_exp_f16_e64 v5, v255                  ; encoding: [0x05,0x00,0xd8,0xd5,0xff,0x01,0x01,0x02]

v_exp_f16_e64 v5, s1
// GFX1250: v_exp_f16_e64 v5, s1                    ; encoding: [0x05,0x00,0xd8,0xd5,0x01,0x00,0x01,0x02]

v_exp_f16_e64 v5, s105
// GFX1250: v_exp_f16_e64 v5, s105                  ; encoding: [0x05,0x00,0xd8,0xd5,0x69,0x00,0x01,0x02]

v_exp_f16_e64 v5, vcc_lo
// GFX1250: v_exp_f16_e64 v5, vcc_lo                ; encoding: [0x05,0x00,0xd8,0xd5,0x6a,0x00,0x01,0x02]

v_exp_f16_e64 v5, vcc_hi
// GFX1250: v_exp_f16_e64 v5, vcc_hi                ; encoding: [0x05,0x00,0xd8,0xd5,0x6b,0x00,0x01,0x02]

v_exp_f16_e64 v5, ttmp15
// GFX1250: v_exp_f16_e64 v5, ttmp15                ; encoding: [0x05,0x00,0xd8,0xd5,0x7b,0x00,0x01,0x02]

v_exp_f16_e64 v5, m0
// GFX1250: v_exp_f16_e64 v5, m0                    ; encoding: [0x05,0x00,0xd8,0xd5,0x7d,0x00,0x01,0x02]

v_exp_f16_e64 v5, exec_lo
// GFX1250: v_exp_f16_e64 v5, exec_lo               ; encoding: [0x05,0x00,0xd8,0xd5,0x7e,0x00,0x01,0x02]

v_exp_f16_e64 v5, exec_hi
// GFX1250: v_exp_f16_e64 v5, exec_hi               ; encoding: [0x05,0x00,0xd8,0xd5,0x7f,0x00,0x01,0x02]

v_exp_f16_e64 v5, null
// GFX1250: v_exp_f16_e64 v5, null                  ; encoding: [0x05,0x00,0xd8,0xd5,0x7c,0x00,0x01,0x02]

v_exp_f16_e64 v5, -1
// GFX1250: v_exp_f16_e64 v5, -1                    ; encoding: [0x05,0x00,0xd8,0xd5,0xc1,0x00,0x01,0x02]

v_exp_f16_e64 v5, 0.5 mul:2
// GFX1250: v_exp_f16_e64 v5, 0.5 mul:2             ; encoding: [0x05,0x00,0xd8,0xd5,0xf0,0x00,0x01,0x0a]

v_exp_f16_e64 v5, src_scc mul:4
// GFX1250: v_exp_f16_e64 v5, src_scc mul:4         ; encoding: [0x05,0x00,0xd8,0xd5,0xfd,0x00,0x01,0x12]

v_exp_f16_e64 v255, -|0xfe0b| clamp div:2
// GFX1250: v_exp_f16_e64 v255, -|0xfe0b| clamp div:2 ; encoding: [0xff,0x81,0xd8,0xd5,0xff,0x00,0x01,0x3a,0x0b,0xfe,0x00,0x00]

v_exp_f32_e64 v5, v1
// GFX1250: v_exp_f32_e64 v5, v1                    ; encoding: [0x05,0x00,0xa5,0xd5,0x01,0x01,0x01,0x02]

v_exp_f32_e64 v5, v255
// GFX1250: v_exp_f32_e64 v5, v255                  ; encoding: [0x05,0x00,0xa5,0xd5,0xff,0x01,0x01,0x02]

v_exp_f32_e64 v5, s1
// GFX1250: v_exp_f32_e64 v5, s1                    ; encoding: [0x05,0x00,0xa5,0xd5,0x01,0x00,0x01,0x02]

v_exp_f32_e64 v5, s105
// GFX1250: v_exp_f32_e64 v5, s105                  ; encoding: [0x05,0x00,0xa5,0xd5,0x69,0x00,0x01,0x02]

v_exp_f32_e64 v5, vcc_lo
// GFX1250: v_exp_f32_e64 v5, vcc_lo                ; encoding: [0x05,0x00,0xa5,0xd5,0x6a,0x00,0x01,0x02]

v_exp_f32_e64 v5, vcc_hi
// GFX1250: v_exp_f32_e64 v5, vcc_hi                ; encoding: [0x05,0x00,0xa5,0xd5,0x6b,0x00,0x01,0x02]

v_exp_f32_e64 v5, ttmp15
// GFX1250: v_exp_f32_e64 v5, ttmp15                ; encoding: [0x05,0x00,0xa5,0xd5,0x7b,0x00,0x01,0x02]

v_exp_f32_e64 v5, m0
// GFX1250: v_exp_f32_e64 v5, m0                    ; encoding: [0x05,0x00,0xa5,0xd5,0x7d,0x00,0x01,0x02]

v_exp_f32_e64 v5, exec_lo
// GFX1250: v_exp_f32_e64 v5, exec_lo               ; encoding: [0x05,0x00,0xa5,0xd5,0x7e,0x00,0x01,0x02]

v_exp_f32_e64 v5, exec_hi
// GFX1250: v_exp_f32_e64 v5, exec_hi               ; encoding: [0x05,0x00,0xa5,0xd5,0x7f,0x00,0x01,0x02]

v_exp_f32_e64 v5, null
// GFX1250: v_exp_f32_e64 v5, null                  ; encoding: [0x05,0x00,0xa5,0xd5,0x7c,0x00,0x01,0x02]

v_exp_f32_e64 v5, -1
// GFX1250: v_exp_f32_e64 v5, -1                    ; encoding: [0x05,0x00,0xa5,0xd5,0xc1,0x00,0x01,0x02]

v_exp_f32_e64 v5, 0.5 mul:2
// GFX1250: v_exp_f32_e64 v5, 0.5 mul:2             ; encoding: [0x05,0x00,0xa5,0xd5,0xf0,0x00,0x01,0x0a]

v_exp_f32_e64 v5, src_scc mul:4
// GFX1250: v_exp_f32_e64 v5, src_scc mul:4         ; encoding: [0x05,0x00,0xa5,0xd5,0xfd,0x00,0x01,0x12]

v_exp_f32_e64 v255, -|0xaf123456| clamp div:2
// GFX1250: v_exp_f32_e64 v255, -|0xaf123456| clamp div:2 ; encoding: [0xff,0x81,0xa5,0xd5,0xff,0x00,0x01,0x3a,0x56,0x34,0x12,0xaf]

v_ffbh_i32_e64 v5, v1
// GFX1250: v_cls_i32_e64 v5, v1                    ; encoding: [0x05,0x00,0xbb,0xd5,0x01,0x01,0x01,0x02]

v_ffbh_i32_e64 v5, v255
// GFX1250: v_cls_i32_e64 v5, v255                  ; encoding: [0x05,0x00,0xbb,0xd5,0xff,0x01,0x01,0x02]

v_ffbh_i32_e64 v5, s1
// GFX1250: v_cls_i32_e64 v5, s1                    ; encoding: [0x05,0x00,0xbb,0xd5,0x01,0x00,0x01,0x02]

v_ffbh_i32_e64 v5, s105
// GFX1250: v_cls_i32_e64 v5, s105                  ; encoding: [0x05,0x00,0xbb,0xd5,0x69,0x00,0x01,0x02]

v_ffbh_i32_e64 v5, vcc_lo
// GFX1250: v_cls_i32_e64 v5, vcc_lo                ; encoding: [0x05,0x00,0xbb,0xd5,0x6a,0x00,0x01,0x02]

v_ffbh_i32_e64 v5, vcc_hi
// GFX1250: v_cls_i32_e64 v5, vcc_hi                ; encoding: [0x05,0x00,0xbb,0xd5,0x6b,0x00,0x01,0x02]

v_ffbh_i32_e64 v5, ttmp15
// GFX1250: v_cls_i32_e64 v5, ttmp15                ; encoding: [0x05,0x00,0xbb,0xd5,0x7b,0x00,0x01,0x02]

v_ffbh_i32_e64 v5, m0
// GFX1250: v_cls_i32_e64 v5, m0                    ; encoding: [0x05,0x00,0xbb,0xd5,0x7d,0x00,0x01,0x02]

v_ffbh_i32_e64 v5, exec_lo
// GFX1250: v_cls_i32_e64 v5, exec_lo               ; encoding: [0x05,0x00,0xbb,0xd5,0x7e,0x00,0x01,0x02]

v_ffbh_i32_e64 v5, exec_hi
// GFX1250: v_cls_i32_e64 v5, exec_hi               ; encoding: [0x05,0x00,0xbb,0xd5,0x7f,0x00,0x01,0x02]

v_ffbh_i32_e64 v5, null
// GFX1250: v_cls_i32_e64 v5, null                  ; encoding: [0x05,0x00,0xbb,0xd5,0x7c,0x00,0x01,0x02]

v_ffbh_i32_e64 v5, -1
// GFX1250: v_cls_i32_e64 v5, -1                    ; encoding: [0x05,0x00,0xbb,0xd5,0xc1,0x00,0x01,0x02]

v_ffbh_i32_e64 v5, 0.5
// GFX1250: v_cls_i32_e64 v5, 0.5                   ; encoding: [0x05,0x00,0xbb,0xd5,0xf0,0x00,0x01,0x02]

v_ffbh_i32_e64 v5, src_scc
// GFX1250: v_cls_i32_e64 v5, src_scc               ; encoding: [0x05,0x00,0xbb,0xd5,0xfd,0x00,0x01,0x02]

v_ffbh_i32_e64 v255, 0xaf123456
// GFX1250: v_cls_i32_e64 v255, 0xaf123456          ; encoding: [0xff,0x00,0xbb,0xd5,0xff,0x00,0x01,0x02,0x56,0x34,0x12,0xaf]

v_ffbh_u32_e64 v5, v1
// GFX1250: v_clz_i32_u32_e64 v5, v1                ; encoding: [0x05,0x00,0xb9,0xd5,0x01,0x01,0x01,0x02]

v_ffbh_u32_e64 v5, v255
// GFX1250: v_clz_i32_u32_e64 v5, v255              ; encoding: [0x05,0x00,0xb9,0xd5,0xff,0x01,0x01,0x02]

v_ffbh_u32_e64 v5, s1
// GFX1250: v_clz_i32_u32_e64 v5, s1                ; encoding: [0x05,0x00,0xb9,0xd5,0x01,0x00,0x01,0x02]

v_ffbh_u32_e64 v5, s105
// GFX1250: v_clz_i32_u32_e64 v5, s105              ; encoding: [0x05,0x00,0xb9,0xd5,0x69,0x00,0x01,0x02]

v_ffbh_u32_e64 v5, vcc_lo
// GFX1250: v_clz_i32_u32_e64 v5, vcc_lo            ; encoding: [0x05,0x00,0xb9,0xd5,0x6a,0x00,0x01,0x02]

v_ffbh_u32_e64 v5, vcc_hi
// GFX1250: v_clz_i32_u32_e64 v5, vcc_hi            ; encoding: [0x05,0x00,0xb9,0xd5,0x6b,0x00,0x01,0x02]

v_ffbh_u32_e64 v5, ttmp15
// GFX1250: v_clz_i32_u32_e64 v5, ttmp15            ; encoding: [0x05,0x00,0xb9,0xd5,0x7b,0x00,0x01,0x02]

v_ffbh_u32_e64 v5, m0
// GFX1250: v_clz_i32_u32_e64 v5, m0                ; encoding: [0x05,0x00,0xb9,0xd5,0x7d,0x00,0x01,0x02]

v_ffbh_u32_e64 v5, exec_lo
// GFX1250: v_clz_i32_u32_e64 v5, exec_lo           ; encoding: [0x05,0x00,0xb9,0xd5,0x7e,0x00,0x01,0x02]

v_ffbh_u32_e64 v5, exec_hi
// GFX1250: v_clz_i32_u32_e64 v5, exec_hi           ; encoding: [0x05,0x00,0xb9,0xd5,0x7f,0x00,0x01,0x02]

v_ffbh_u32_e64 v5, null
// GFX1250: v_clz_i32_u32_e64 v5, null              ; encoding: [0x05,0x00,0xb9,0xd5,0x7c,0x00,0x01,0x02]

v_ffbh_u32_e64 v5, -1
// GFX1250: v_clz_i32_u32_e64 v5, -1                ; encoding: [0x05,0x00,0xb9,0xd5,0xc1,0x00,0x01,0x02]

v_ffbh_u32_e64 v5, 0.5
// GFX1250: v_clz_i32_u32_e64 v5, 0.5               ; encoding: [0x05,0x00,0xb9,0xd5,0xf0,0x00,0x01,0x02]

v_ffbh_u32_e64 v5, src_scc
// GFX1250: v_clz_i32_u32_e64 v5, src_scc           ; encoding: [0x05,0x00,0xb9,0xd5,0xfd,0x00,0x01,0x02]

v_ffbh_u32_e64 v255, 0xaf123456
// GFX1250: v_clz_i32_u32_e64 v255, 0xaf123456      ; encoding: [0xff,0x00,0xb9,0xd5,0xff,0x00,0x01,0x02,0x56,0x34,0x12,0xaf]

v_ffbl_b32_e64 v5, v1
// GFX1250: v_ctz_i32_b32_e64 v5, v1                ; encoding: [0x05,0x00,0xba,0xd5,0x01,0x01,0x01,0x02]

v_ffbl_b32_e64 v5, v255
// GFX1250: v_ctz_i32_b32_e64 v5, v255              ; encoding: [0x05,0x00,0xba,0xd5,0xff,0x01,0x01,0x02]

v_ffbl_b32_e64 v5, s1
// GFX1250: v_ctz_i32_b32_e64 v5, s1                ; encoding: [0x05,0x00,0xba,0xd5,0x01,0x00,0x01,0x02]

v_ffbl_b32_e64 v5, s105
// GFX1250: v_ctz_i32_b32_e64 v5, s105              ; encoding: [0x05,0x00,0xba,0xd5,0x69,0x00,0x01,0x02]

v_ffbl_b32_e64 v5, vcc_lo
// GFX1250: v_ctz_i32_b32_e64 v5, vcc_lo            ; encoding: [0x05,0x00,0xba,0xd5,0x6a,0x00,0x01,0x02]

v_ffbl_b32_e64 v5, vcc_hi
// GFX1250: v_ctz_i32_b32_e64 v5, vcc_hi            ; encoding: [0x05,0x00,0xba,0xd5,0x6b,0x00,0x01,0x02]

v_ffbl_b32_e64 v5, ttmp15
// GFX1250: v_ctz_i32_b32_e64 v5, ttmp15            ; encoding: [0x05,0x00,0xba,0xd5,0x7b,0x00,0x01,0x02]

v_ffbl_b32_e64 v5, m0
// GFX1250: v_ctz_i32_b32_e64 v5, m0                ; encoding: [0x05,0x00,0xba,0xd5,0x7d,0x00,0x01,0x02]

v_ffbl_b32_e64 v5, exec_lo
// GFX1250: v_ctz_i32_b32_e64 v5, exec_lo           ; encoding: [0x05,0x00,0xba,0xd5,0x7e,0x00,0x01,0x02]

v_ffbl_b32_e64 v5, exec_hi
// GFX1250: v_ctz_i32_b32_e64 v5, exec_hi           ; encoding: [0x05,0x00,0xba,0xd5,0x7f,0x00,0x01,0x02]

v_ffbl_b32_e64 v5, null
// GFX1250: v_ctz_i32_b32_e64 v5, null              ; encoding: [0x05,0x00,0xba,0xd5,0x7c,0x00,0x01,0x02]

v_ffbl_b32_e64 v5, -1
// GFX1250: v_ctz_i32_b32_e64 v5, -1                ; encoding: [0x05,0x00,0xba,0xd5,0xc1,0x00,0x01,0x02]

v_ffbl_b32_e64 v5, 0.5
// GFX1250: v_ctz_i32_b32_e64 v5, 0.5               ; encoding: [0x05,0x00,0xba,0xd5,0xf0,0x00,0x01,0x02]

v_ffbl_b32_e64 v5, src_scc
// GFX1250: v_ctz_i32_b32_e64 v5, src_scc           ; encoding: [0x05,0x00,0xba,0xd5,0xfd,0x00,0x01,0x02]

v_ffbl_b32_e64 v255, 0xaf123456
// GFX1250: v_ctz_i32_b32_e64 v255, 0xaf123456      ; encoding: [0xff,0x00,0xba,0xd5,0xff,0x00,0x01,0x02,0x56,0x34,0x12,0xaf]

v_floor_f16_e64 v5, v1
// GFX1250: v_floor_f16_e64 v5, v1                  ; encoding: [0x05,0x00,0xdb,0xd5,0x01,0x01,0x01,0x02]

v_floor_f16_e64 v5, v255
// GFX1250: v_floor_f16_e64 v5, v255                ; encoding: [0x05,0x00,0xdb,0xd5,0xff,0x01,0x01,0x02]

v_floor_f16_e64 v5, s1
// GFX1250: v_floor_f16_e64 v5, s1                  ; encoding: [0x05,0x00,0xdb,0xd5,0x01,0x00,0x01,0x02]

v_floor_f16_e64 v5, s105
// GFX1250: v_floor_f16_e64 v5, s105                ; encoding: [0x05,0x00,0xdb,0xd5,0x69,0x00,0x01,0x02]

v_floor_f16_e64 v5, vcc_lo
// GFX1250: v_floor_f16_e64 v5, vcc_lo              ; encoding: [0x05,0x00,0xdb,0xd5,0x6a,0x00,0x01,0x02]

v_floor_f16_e64 v5, vcc_hi
// GFX1250: v_floor_f16_e64 v5, vcc_hi              ; encoding: [0x05,0x00,0xdb,0xd5,0x6b,0x00,0x01,0x02]

v_floor_f16_e64 v5, ttmp15
// GFX1250: v_floor_f16_e64 v5, ttmp15              ; encoding: [0x05,0x00,0xdb,0xd5,0x7b,0x00,0x01,0x02]

v_floor_f16_e64 v5, m0
// GFX1250: v_floor_f16_e64 v5, m0                  ; encoding: [0x05,0x00,0xdb,0xd5,0x7d,0x00,0x01,0x02]

v_floor_f16_e64 v5, exec_lo
// GFX1250: v_floor_f16_e64 v5, exec_lo             ; encoding: [0x05,0x00,0xdb,0xd5,0x7e,0x00,0x01,0x02]

v_floor_f16_e64 v5, exec_hi
// GFX1250: v_floor_f16_e64 v5, exec_hi             ; encoding: [0x05,0x00,0xdb,0xd5,0x7f,0x00,0x01,0x02]

v_floor_f16_e64 v5, null
// GFX1250: v_floor_f16_e64 v5, null                ; encoding: [0x05,0x00,0xdb,0xd5,0x7c,0x00,0x01,0x02]

v_floor_f16_e64 v5, -1
// GFX1250: v_floor_f16_e64 v5, -1                  ; encoding: [0x05,0x00,0xdb,0xd5,0xc1,0x00,0x01,0x02]

v_floor_f16_e64 v5, 0.5 mul:2
// GFX1250: v_floor_f16_e64 v5, 0.5 mul:2           ; encoding: [0x05,0x00,0xdb,0xd5,0xf0,0x00,0x01,0x0a]

v_floor_f16_e64 v5, src_scc mul:4
// GFX1250: v_floor_f16_e64 v5, src_scc mul:4       ; encoding: [0x05,0x00,0xdb,0xd5,0xfd,0x00,0x01,0x12]

v_floor_f16_e64 v255, -|0xfe0b| clamp div:2
// GFX1250: v_floor_f16_e64 v255, -|0xfe0b| clamp div:2 ; encoding: [0xff,0x81,0xdb,0xd5,0xff,0x00,0x01,0x3a,0x0b,0xfe,0x00,0x00]

v_floor_f32_e64 v5, v1
// GFX1250: v_floor_f32_e64 v5, v1                  ; encoding: [0x05,0x00,0xa4,0xd5,0x01,0x01,0x01,0x02]

v_floor_f32_e64 v5, v255
// GFX1250: v_floor_f32_e64 v5, v255                ; encoding: [0x05,0x00,0xa4,0xd5,0xff,0x01,0x01,0x02]

v_floor_f32_e64 v5, s1
// GFX1250: v_floor_f32_e64 v5, s1                  ; encoding: [0x05,0x00,0xa4,0xd5,0x01,0x00,0x01,0x02]

v_floor_f32_e64 v5, s105
// GFX1250: v_floor_f32_e64 v5, s105                ; encoding: [0x05,0x00,0xa4,0xd5,0x69,0x00,0x01,0x02]

v_floor_f32_e64 v5, vcc_lo
// GFX1250: v_floor_f32_e64 v5, vcc_lo              ; encoding: [0x05,0x00,0xa4,0xd5,0x6a,0x00,0x01,0x02]

v_floor_f32_e64 v5, vcc_hi
// GFX1250: v_floor_f32_e64 v5, vcc_hi              ; encoding: [0x05,0x00,0xa4,0xd5,0x6b,0x00,0x01,0x02]

v_floor_f32_e64 v5, ttmp15
// GFX1250: v_floor_f32_e64 v5, ttmp15              ; encoding: [0x05,0x00,0xa4,0xd5,0x7b,0x00,0x01,0x02]

v_floor_f32_e64 v5, m0
// GFX1250: v_floor_f32_e64 v5, m0                  ; encoding: [0x05,0x00,0xa4,0xd5,0x7d,0x00,0x01,0x02]

v_floor_f32_e64 v5, exec_lo
// GFX1250: v_floor_f32_e64 v5, exec_lo             ; encoding: [0x05,0x00,0xa4,0xd5,0x7e,0x00,0x01,0x02]

v_floor_f32_e64 v5, exec_hi
// GFX1250: v_floor_f32_e64 v5, exec_hi             ; encoding: [0x05,0x00,0xa4,0xd5,0x7f,0x00,0x01,0x02]

v_floor_f32_e64 v5, null
// GFX1250: v_floor_f32_e64 v5, null                ; encoding: [0x05,0x00,0xa4,0xd5,0x7c,0x00,0x01,0x02]

v_floor_f32_e64 v5, -1
// GFX1250: v_floor_f32_e64 v5, -1                  ; encoding: [0x05,0x00,0xa4,0xd5,0xc1,0x00,0x01,0x02]

v_floor_f32_e64 v5, 0.5 mul:2
// GFX1250: v_floor_f32_e64 v5, 0.5 mul:2           ; encoding: [0x05,0x00,0xa4,0xd5,0xf0,0x00,0x01,0x0a]

v_floor_f32_e64 v5, src_scc mul:4
// GFX1250: v_floor_f32_e64 v5, src_scc mul:4       ; encoding: [0x05,0x00,0xa4,0xd5,0xfd,0x00,0x01,0x12]

v_floor_f32_e64 v255, -|0xaf123456| clamp div:2
// GFX1250: v_floor_f32_e64 v255, -|0xaf123456| clamp div:2 ; encoding: [0xff,0x81,0xa4,0xd5,0xff,0x00,0x01,0x3a,0x56,0x34,0x12,0xaf]

v_floor_f64_e64 v[6:7], v[2:3]
// GFX1250: v_floor_f64_e64 v[6:7], v[2:3]          ; encoding: [0x06,0x00,0x9a,0xd5,0x02,0x01,0x01,0x02]

v_floor_f64_e64 v[6:7], v[254:255]
// GFX1250: v_floor_f64_e64 v[6:7], v[254:255]      ; encoding: [0x06,0x00,0x9a,0xd5,0xfe,0x01,0x01,0x02]

v_floor_f64_e64 v[6:7], s[2:3]
// GFX1250: v_floor_f64_e64 v[6:7], s[2:3]          ; encoding: [0x06,0x00,0x9a,0xd5,0x02,0x00,0x01,0x02]

v_floor_f64_e64 v[6:7], s[104:105]
// GFX1250: v_floor_f64_e64 v[6:7], s[104:105]      ; encoding: [0x06,0x00,0x9a,0xd5,0x68,0x00,0x01,0x02]

v_floor_f64_e64 v[6:7], vcc
// GFX1250: v_floor_f64_e64 v[6:7], vcc             ; encoding: [0x06,0x00,0x9a,0xd5,0x6a,0x00,0x01,0x02]

v_floor_f64_e64 v[6:7], ttmp[14:15]
// GFX1250: v_floor_f64_e64 v[6:7], ttmp[14:15]     ; encoding: [0x06,0x00,0x9a,0xd5,0x7a,0x00,0x01,0x02]

v_floor_f64_e64 v[6:7], exec
// GFX1250: v_floor_f64_e64 v[6:7], exec            ; encoding: [0x06,0x00,0x9a,0xd5,0x7e,0x00,0x01,0x02]

v_floor_f64_e64 v[6:7], null
// GFX1250: v_floor_f64_e64 v[6:7], null            ; encoding: [0x06,0x00,0x9a,0xd5,0x7c,0x00,0x01,0x02]

v_floor_f64_e64 v[6:7], -1
// GFX1250: v_floor_f64_e64 v[6:7], -1              ; encoding: [0x06,0x00,0x9a,0xd5,0xc1,0x00,0x01,0x02]

v_floor_f64_e64 v[6:7], 0.5 mul:2
// GFX1250: v_floor_f64_e64 v[6:7], 0.5 mul:2       ; encoding: [0x06,0x00,0x9a,0xd5,0xf0,0x00,0x01,0x0a]

v_floor_f64_e64 v[6:7], -|src_scc| mul:4
// GFX1250: v_floor_f64_e64 v[6:7], -|src_scc| mul:4 ; encoding: [0x06,0x01,0x9a,0xd5,0xfd,0x00,0x01,0x32]

v_floor_f64_e64 v[254:255], 0xaf123456 clamp div:2
// GFX1250: v_floor_f64_e64 v[254:255], 0xaf123456 clamp div:2 ; encoding: [0xfe,0x80,0x9a,0xd5,0xff,0x00,0x01,0x1a,0x56,0x34,0x12,0xaf]

v_fract_f16_e64 v5, v1
// GFX1250: v_fract_f16_e64 v5, v1                  ; encoding: [0x05,0x00,0xdf,0xd5,0x01,0x01,0x01,0x02]

v_fract_f16_e64 v5, v255
// GFX1250: v_fract_f16_e64 v5, v255                ; encoding: [0x05,0x00,0xdf,0xd5,0xff,0x01,0x01,0x02]

v_fract_f16_e64 v5, s1
// GFX1250: v_fract_f16_e64 v5, s1                  ; encoding: [0x05,0x00,0xdf,0xd5,0x01,0x00,0x01,0x02]

v_fract_f16_e64 v5, s105
// GFX1250: v_fract_f16_e64 v5, s105                ; encoding: [0x05,0x00,0xdf,0xd5,0x69,0x00,0x01,0x02]

v_fract_f16_e64 v5, vcc_lo
// GFX1250: v_fract_f16_e64 v5, vcc_lo              ; encoding: [0x05,0x00,0xdf,0xd5,0x6a,0x00,0x01,0x02]

v_fract_f16_e64 v5, vcc_hi
// GFX1250: v_fract_f16_e64 v5, vcc_hi              ; encoding: [0x05,0x00,0xdf,0xd5,0x6b,0x00,0x01,0x02]

v_fract_f16_e64 v5, ttmp15
// GFX1250: v_fract_f16_e64 v5, ttmp15              ; encoding: [0x05,0x00,0xdf,0xd5,0x7b,0x00,0x01,0x02]

v_fract_f16_e64 v5, m0
// GFX1250: v_fract_f16_e64 v5, m0                  ; encoding: [0x05,0x00,0xdf,0xd5,0x7d,0x00,0x01,0x02]

v_fract_f16_e64 v5, exec_lo
// GFX1250: v_fract_f16_e64 v5, exec_lo             ; encoding: [0x05,0x00,0xdf,0xd5,0x7e,0x00,0x01,0x02]

v_fract_f16_e64 v5, exec_hi
// GFX1250: v_fract_f16_e64 v5, exec_hi             ; encoding: [0x05,0x00,0xdf,0xd5,0x7f,0x00,0x01,0x02]

v_fract_f16_e64 v5, null
// GFX1250: v_fract_f16_e64 v5, null                ; encoding: [0x05,0x00,0xdf,0xd5,0x7c,0x00,0x01,0x02]

v_fract_f16_e64 v5, -1
// GFX1250: v_fract_f16_e64 v5, -1                  ; encoding: [0x05,0x00,0xdf,0xd5,0xc1,0x00,0x01,0x02]

v_fract_f16_e64 v5, 0.5 mul:2
// GFX1250: v_fract_f16_e64 v5, 0.5 mul:2           ; encoding: [0x05,0x00,0xdf,0xd5,0xf0,0x00,0x01,0x0a]

v_fract_f16_e64 v5, src_scc mul:4
// GFX1250: v_fract_f16_e64 v5, src_scc mul:4       ; encoding: [0x05,0x00,0xdf,0xd5,0xfd,0x00,0x01,0x12]

v_fract_f16_e64 v255, -|0xfe0b| clamp div:2
// GFX1250: v_fract_f16_e64 v255, -|0xfe0b| clamp div:2 ; encoding: [0xff,0x81,0xdf,0xd5,0xff,0x00,0x01,0x3a,0x0b,0xfe,0x00,0x00]

v_fract_f32_e64 v5, v1
// GFX1250: v_fract_f32_e64 v5, v1                  ; encoding: [0x05,0x00,0xa0,0xd5,0x01,0x01,0x01,0x02]

v_fract_f32_e64 v5, v255
// GFX1250: v_fract_f32_e64 v5, v255                ; encoding: [0x05,0x00,0xa0,0xd5,0xff,0x01,0x01,0x02]

v_fract_f32_e64 v5, s1
// GFX1250: v_fract_f32_e64 v5, s1                  ; encoding: [0x05,0x00,0xa0,0xd5,0x01,0x00,0x01,0x02]

v_fract_f32_e64 v5, s105
// GFX1250: v_fract_f32_e64 v5, s105                ; encoding: [0x05,0x00,0xa0,0xd5,0x69,0x00,0x01,0x02]

v_fract_f32_e64 v5, vcc_lo
// GFX1250: v_fract_f32_e64 v5, vcc_lo              ; encoding: [0x05,0x00,0xa0,0xd5,0x6a,0x00,0x01,0x02]

v_fract_f32_e64 v5, vcc_hi
// GFX1250: v_fract_f32_e64 v5, vcc_hi              ; encoding: [0x05,0x00,0xa0,0xd5,0x6b,0x00,0x01,0x02]

v_fract_f32_e64 v5, ttmp15
// GFX1250: v_fract_f32_e64 v5, ttmp15              ; encoding: [0x05,0x00,0xa0,0xd5,0x7b,0x00,0x01,0x02]

v_fract_f32_e64 v5, m0
// GFX1250: v_fract_f32_e64 v5, m0                  ; encoding: [0x05,0x00,0xa0,0xd5,0x7d,0x00,0x01,0x02]

v_fract_f32_e64 v5, exec_lo
// GFX1250: v_fract_f32_e64 v5, exec_lo             ; encoding: [0x05,0x00,0xa0,0xd5,0x7e,0x00,0x01,0x02]

v_fract_f32_e64 v5, exec_hi
// GFX1250: v_fract_f32_e64 v5, exec_hi             ; encoding: [0x05,0x00,0xa0,0xd5,0x7f,0x00,0x01,0x02]

v_fract_f32_e64 v5, null
// GFX1250: v_fract_f32_e64 v5, null                ; encoding: [0x05,0x00,0xa0,0xd5,0x7c,0x00,0x01,0x02]

v_fract_f32_e64 v5, -1
// GFX1250: v_fract_f32_e64 v5, -1                  ; encoding: [0x05,0x00,0xa0,0xd5,0xc1,0x00,0x01,0x02]

v_fract_f32_e64 v5, 0.5 mul:2
// GFX1250: v_fract_f32_e64 v5, 0.5 mul:2           ; encoding: [0x05,0x00,0xa0,0xd5,0xf0,0x00,0x01,0x0a]

v_fract_f32_e64 v5, src_scc mul:4
// GFX1250: v_fract_f32_e64 v5, src_scc mul:4       ; encoding: [0x05,0x00,0xa0,0xd5,0xfd,0x00,0x01,0x12]

v_fract_f32_e64 v255, -|0xaf123456| clamp div:2
// GFX1250: v_fract_f32_e64 v255, -|0xaf123456| clamp div:2 ; encoding: [0xff,0x81,0xa0,0xd5,0xff,0x00,0x01,0x3a,0x56,0x34,0x12,0xaf]

v_fract_f64_e64 v[6:7], v[2:3]
// GFX1250: v_fract_f64_e64 v[6:7], v[2:3]          ; encoding: [0x06,0x00,0xbe,0xd5,0x02,0x01,0x01,0x02]

v_fract_f64_e64 v[6:7], v[254:255]
// GFX1250: v_fract_f64_e64 v[6:7], v[254:255]      ; encoding: [0x06,0x00,0xbe,0xd5,0xfe,0x01,0x01,0x02]

v_fract_f64_e64 v[6:7], s[2:3]
// GFX1250: v_fract_f64_e64 v[6:7], s[2:3]          ; encoding: [0x06,0x00,0xbe,0xd5,0x02,0x00,0x01,0x02]

v_fract_f64_e64 v[6:7], s[104:105]
// GFX1250: v_fract_f64_e64 v[6:7], s[104:105]      ; encoding: [0x06,0x00,0xbe,0xd5,0x68,0x00,0x01,0x02]

v_fract_f64_e64 v[6:7], vcc
// GFX1250: v_fract_f64_e64 v[6:7], vcc             ; encoding: [0x06,0x00,0xbe,0xd5,0x6a,0x00,0x01,0x02]

v_fract_f64_e64 v[6:7], ttmp[14:15]
// GFX1250: v_fract_f64_e64 v[6:7], ttmp[14:15]     ; encoding: [0x06,0x00,0xbe,0xd5,0x7a,0x00,0x01,0x02]

v_fract_f64_e64 v[6:7], exec
// GFX1250: v_fract_f64_e64 v[6:7], exec            ; encoding: [0x06,0x00,0xbe,0xd5,0x7e,0x00,0x01,0x02]

v_fract_f64_e64 v[6:7], null
// GFX1250: v_fract_f64_e64 v[6:7], null            ; encoding: [0x06,0x00,0xbe,0xd5,0x7c,0x00,0x01,0x02]

v_fract_f64_e64 v[6:7], -1
// GFX1250: v_fract_f64_e64 v[6:7], -1              ; encoding: [0x06,0x00,0xbe,0xd5,0xc1,0x00,0x01,0x02]

v_fract_f64_e64 v[6:7], 0.5 mul:2
// GFX1250: v_fract_f64_e64 v[6:7], 0.5 mul:2       ; encoding: [0x06,0x00,0xbe,0xd5,0xf0,0x00,0x01,0x0a]

v_fract_f64_e64 v[6:7], -|src_scc| mul:4
// GFX1250: v_fract_f64_e64 v[6:7], -|src_scc| mul:4 ; encoding: [0x06,0x01,0xbe,0xd5,0xfd,0x00,0x01,0x32]

v_fract_f64_e64 v[254:255], 0xaf123456 clamp div:2
// GFX1250: v_fract_f64_e64 v[254:255], 0xaf123456 clamp div:2 ; encoding: [0xfe,0x80,0xbe,0xd5,0xff,0x00,0x01,0x1a,0x56,0x34,0x12,0xaf]

v_frexp_exp_i16_f16_e64 v5, v1
// GFX1250: v_frexp_exp_i16_f16_e64 v5, v1          ; encoding: [0x05,0x00,0xda,0xd5,0x01,0x01,0x01,0x02]

v_frexp_exp_i16_f16_e64 v5, v255
// GFX1250: v_frexp_exp_i16_f16_e64 v5, v255        ; encoding: [0x05,0x00,0xda,0xd5,0xff,0x01,0x01,0x02]

v_frexp_exp_i16_f16_e64 v5, s1
// GFX1250: v_frexp_exp_i16_f16_e64 v5, s1          ; encoding: [0x05,0x00,0xda,0xd5,0x01,0x00,0x01,0x02]

v_frexp_exp_i16_f16_e64 v5, s105
// GFX1250: v_frexp_exp_i16_f16_e64 v5, s105        ; encoding: [0x05,0x00,0xda,0xd5,0x69,0x00,0x01,0x02]

v_frexp_exp_i16_f16_e64 v5, vcc_lo
// GFX1250: v_frexp_exp_i16_f16_e64 v5, vcc_lo      ; encoding: [0x05,0x00,0xda,0xd5,0x6a,0x00,0x01,0x02]

v_frexp_exp_i16_f16_e64 v5, vcc_hi
// GFX1250: v_frexp_exp_i16_f16_e64 v5, vcc_hi      ; encoding: [0x05,0x00,0xda,0xd5,0x6b,0x00,0x01,0x02]

v_frexp_exp_i16_f16_e64 v5, ttmp15
// GFX1250: v_frexp_exp_i16_f16_e64 v5, ttmp15      ; encoding: [0x05,0x00,0xda,0xd5,0x7b,0x00,0x01,0x02]

v_frexp_exp_i16_f16_e64 v5, m0
// GFX1250: v_frexp_exp_i16_f16_e64 v5, m0          ; encoding: [0x05,0x00,0xda,0xd5,0x7d,0x00,0x01,0x02]

v_frexp_exp_i16_f16_e64 v5, exec_lo
// GFX1250: v_frexp_exp_i16_f16_e64 v5, exec_lo     ; encoding: [0x05,0x00,0xda,0xd5,0x7e,0x00,0x01,0x02]

v_frexp_exp_i16_f16_e64 v5, exec_hi
// GFX1250: v_frexp_exp_i16_f16_e64 v5, exec_hi     ; encoding: [0x05,0x00,0xda,0xd5,0x7f,0x00,0x01,0x02]

v_frexp_exp_i16_f16_e64 v5, null
// GFX1250: v_frexp_exp_i16_f16_e64 v5, null        ; encoding: [0x05,0x00,0xda,0xd5,0x7c,0x00,0x01,0x02]

v_frexp_exp_i16_f16_e64 v5, -1
// GFX1250: v_frexp_exp_i16_f16_e64 v5, -1          ; encoding: [0x05,0x00,0xda,0xd5,0xc1,0x00,0x01,0x02]

v_frexp_exp_i16_f16_e64 v5, 0.5
// GFX1250: v_frexp_exp_i16_f16_e64 v5, 0.5         ; encoding: [0x05,0x00,0xda,0xd5,0xf0,0x00,0x01,0x02]

v_frexp_exp_i16_f16_e64 v5, src_scc
// GFX1250: v_frexp_exp_i16_f16_e64 v5, src_scc     ; encoding: [0x05,0x00,0xda,0xd5,0xfd,0x00,0x01,0x02]

v_frexp_exp_i16_f16_e64 v255, -|0xfe0b|
// GFX1250: v_frexp_exp_i16_f16_e64 v255, -|0xfe0b| ; encoding: [0xff,0x01,0xda,0xd5,0xff,0x00,0x01,0x22,0x0b,0xfe,0x00,0x00]

v_frexp_exp_i32_f32_e64 v5, v1
// GFX1250: v_frexp_exp_i32_f32_e64 v5, v1          ; encoding: [0x05,0x00,0xbf,0xd5,0x01,0x01,0x01,0x02]

v_frexp_exp_i32_f32_e64 v5, v255
// GFX1250: v_frexp_exp_i32_f32_e64 v5, v255        ; encoding: [0x05,0x00,0xbf,0xd5,0xff,0x01,0x01,0x02]

v_frexp_exp_i32_f32_e64 v5, s1
// GFX1250: v_frexp_exp_i32_f32_e64 v5, s1          ; encoding: [0x05,0x00,0xbf,0xd5,0x01,0x00,0x01,0x02]

v_frexp_exp_i32_f32_e64 v5, s105
// GFX1250: v_frexp_exp_i32_f32_e64 v5, s105        ; encoding: [0x05,0x00,0xbf,0xd5,0x69,0x00,0x01,0x02]

v_frexp_exp_i32_f32_e64 v5, vcc_lo
// GFX1250: v_frexp_exp_i32_f32_e64 v5, vcc_lo      ; encoding: [0x05,0x00,0xbf,0xd5,0x6a,0x00,0x01,0x02]

v_frexp_exp_i32_f32_e64 v5, vcc_hi
// GFX1250: v_frexp_exp_i32_f32_e64 v5, vcc_hi      ; encoding: [0x05,0x00,0xbf,0xd5,0x6b,0x00,0x01,0x02]

v_frexp_exp_i32_f32_e64 v5, ttmp15
// GFX1250: v_frexp_exp_i32_f32_e64 v5, ttmp15      ; encoding: [0x05,0x00,0xbf,0xd5,0x7b,0x00,0x01,0x02]

v_frexp_exp_i32_f32_e64 v5, m0
// GFX1250: v_frexp_exp_i32_f32_e64 v5, m0          ; encoding: [0x05,0x00,0xbf,0xd5,0x7d,0x00,0x01,0x02]

v_frexp_exp_i32_f32_e64 v5, exec_lo
// GFX1250: v_frexp_exp_i32_f32_e64 v5, exec_lo     ; encoding: [0x05,0x00,0xbf,0xd5,0x7e,0x00,0x01,0x02]

v_frexp_exp_i32_f32_e64 v5, exec_hi
// GFX1250: v_frexp_exp_i32_f32_e64 v5, exec_hi     ; encoding: [0x05,0x00,0xbf,0xd5,0x7f,0x00,0x01,0x02]

v_frexp_exp_i32_f32_e64 v5, null
// GFX1250: v_frexp_exp_i32_f32_e64 v5, null        ; encoding: [0x05,0x00,0xbf,0xd5,0x7c,0x00,0x01,0x02]

v_frexp_exp_i32_f32_e64 v5, -1
// GFX1250: v_frexp_exp_i32_f32_e64 v5, -1          ; encoding: [0x05,0x00,0xbf,0xd5,0xc1,0x00,0x01,0x02]

v_frexp_exp_i32_f32_e64 v5, 0.5
// GFX1250: v_frexp_exp_i32_f32_e64 v5, 0.5         ; encoding: [0x05,0x00,0xbf,0xd5,0xf0,0x00,0x01,0x02]

v_frexp_exp_i32_f32_e64 v5, src_scc
// GFX1250: v_frexp_exp_i32_f32_e64 v5, src_scc     ; encoding: [0x05,0x00,0xbf,0xd5,0xfd,0x00,0x01,0x02]

v_frexp_exp_i32_f32_e64 v255, -|0xaf123456|
// GFX1250: v_frexp_exp_i32_f32_e64 v255, -|0xaf123456| ; encoding: [0xff,0x01,0xbf,0xd5,0xff,0x00,0x01,0x22,0x56,0x34,0x12,0xaf]

v_frexp_exp_i32_f64_e64 v5, v[2:3]
// GFX1250: v_frexp_exp_i32_f64_e64 v5, v[2:3]      ; encoding: [0x05,0x00,0xbc,0xd5,0x02,0x01,0x01,0x02]

v_frexp_exp_i32_f64_e64 v5, v[254:255]
// GFX1250: v_frexp_exp_i32_f64_e64 v5, v[254:255]  ; encoding: [0x05,0x00,0xbc,0xd5,0xfe,0x01,0x01,0x02]

v_frexp_exp_i32_f64_e64 v5, s[2:3]
// GFX1250: v_frexp_exp_i32_f64_e64 v5, s[2:3]      ; encoding: [0x05,0x00,0xbc,0xd5,0x02,0x00,0x01,0x02]

v_frexp_exp_i32_f64_e64 v5, s[104:105]
// GFX1250: v_frexp_exp_i32_f64_e64 v5, s[104:105]  ; encoding: [0x05,0x00,0xbc,0xd5,0x68,0x00,0x01,0x02]

v_frexp_exp_i32_f64_e64 v5, vcc
// GFX1250: v_frexp_exp_i32_f64_e64 v5, vcc         ; encoding: [0x05,0x00,0xbc,0xd5,0x6a,0x00,0x01,0x02]

v_frexp_exp_i32_f64_e64 v5, ttmp[14:15]
// GFX1250: v_frexp_exp_i32_f64_e64 v5, ttmp[14:15] ; encoding: [0x05,0x00,0xbc,0xd5,0x7a,0x00,0x01,0x02]

v_frexp_exp_i32_f64_e64 v5, exec
// GFX1250: v_frexp_exp_i32_f64_e64 v5, exec        ; encoding: [0x05,0x00,0xbc,0xd5,0x7e,0x00,0x01,0x02]

v_frexp_exp_i32_f64_e64 v5, null
// GFX1250: v_frexp_exp_i32_f64_e64 v5, null        ; encoding: [0x05,0x00,0xbc,0xd5,0x7c,0x00,0x01,0x02]

v_frexp_exp_i32_f64_e64 v5, -1
// GFX1250: v_frexp_exp_i32_f64_e64 v5, -1          ; encoding: [0x05,0x00,0xbc,0xd5,0xc1,0x00,0x01,0x02]

v_frexp_exp_i32_f64_e64 v5, 0.5
// GFX1250: v_frexp_exp_i32_f64_e64 v5, 0.5         ; encoding: [0x05,0x00,0xbc,0xd5,0xf0,0x00,0x01,0x02]

v_frexp_exp_i32_f64_e64 v5, -|src_scc|
// GFX1250: v_frexp_exp_i32_f64_e64 v5, -|src_scc|  ; encoding: [0x05,0x01,0xbc,0xd5,0xfd,0x00,0x01,0x22]

v_frexp_exp_i32_f64_e64 v255, 0xaf123456
// GFX1250: v_frexp_exp_i32_f64_e64 v255, 0xaf123456 ; encoding: [0xff,0x00,0xbc,0xd5,0xff,0x00,0x01,0x02,0x56,0x34,0x12,0xaf]

v_frexp_mant_f16_e64 v5, v1
// GFX1250: v_frexp_mant_f16_e64 v5, v1             ; encoding: [0x05,0x00,0xd9,0xd5,0x01,0x01,0x01,0x02]

v_frexp_mant_f16_e64 v5, v255
// GFX1250: v_frexp_mant_f16_e64 v5, v255           ; encoding: [0x05,0x00,0xd9,0xd5,0xff,0x01,0x01,0x02]

v_frexp_mant_f16_e64 v5, s1
// GFX1250: v_frexp_mant_f16_e64 v5, s1             ; encoding: [0x05,0x00,0xd9,0xd5,0x01,0x00,0x01,0x02]

v_frexp_mant_f16_e64 v5, s105
// GFX1250: v_frexp_mant_f16_e64 v5, s105           ; encoding: [0x05,0x00,0xd9,0xd5,0x69,0x00,0x01,0x02]

v_frexp_mant_f16_e64 v5, vcc_lo
// GFX1250: v_frexp_mant_f16_e64 v5, vcc_lo         ; encoding: [0x05,0x00,0xd9,0xd5,0x6a,0x00,0x01,0x02]

v_frexp_mant_f16_e64 v5, vcc_hi
// GFX1250: v_frexp_mant_f16_e64 v5, vcc_hi         ; encoding: [0x05,0x00,0xd9,0xd5,0x6b,0x00,0x01,0x02]

v_frexp_mant_f16_e64 v5, ttmp15
// GFX1250: v_frexp_mant_f16_e64 v5, ttmp15         ; encoding: [0x05,0x00,0xd9,0xd5,0x7b,0x00,0x01,0x02]

v_frexp_mant_f16_e64 v5, m0
// GFX1250: v_frexp_mant_f16_e64 v5, m0             ; encoding: [0x05,0x00,0xd9,0xd5,0x7d,0x00,0x01,0x02]

v_frexp_mant_f16_e64 v5, exec_lo
// GFX1250: v_frexp_mant_f16_e64 v5, exec_lo        ; encoding: [0x05,0x00,0xd9,0xd5,0x7e,0x00,0x01,0x02]

v_frexp_mant_f16_e64 v5, exec_hi
// GFX1250: v_frexp_mant_f16_e64 v5, exec_hi        ; encoding: [0x05,0x00,0xd9,0xd5,0x7f,0x00,0x01,0x02]

v_frexp_mant_f16_e64 v5, null
// GFX1250: v_frexp_mant_f16_e64 v5, null           ; encoding: [0x05,0x00,0xd9,0xd5,0x7c,0x00,0x01,0x02]

v_frexp_mant_f16_e64 v5, -1
// GFX1250: v_frexp_mant_f16_e64 v5, -1             ; encoding: [0x05,0x00,0xd9,0xd5,0xc1,0x00,0x01,0x02]

v_frexp_mant_f16_e64 v5, 0.5 mul:2
// GFX1250: v_frexp_mant_f16_e64 v5, 0.5 mul:2      ; encoding: [0x05,0x00,0xd9,0xd5,0xf0,0x00,0x01,0x0a]

v_frexp_mant_f16_e64 v5, src_scc mul:4
// GFX1250: v_frexp_mant_f16_e64 v5, src_scc mul:4  ; encoding: [0x05,0x00,0xd9,0xd5,0xfd,0x00,0x01,0x12]

v_frexp_mant_f16_e64 v255, -|0xfe0b| clamp div:2
// GFX1250: v_frexp_mant_f16_e64 v255, -|0xfe0b| clamp div:2 ; encoding: [0xff,0x81,0xd9,0xd5,0xff,0x00,0x01,0x3a,0x0b,0xfe,0x00,0x00]

v_frexp_mant_f32_e64 v5, v1
// GFX1250: v_frexp_mant_f32_e64 v5, v1             ; encoding: [0x05,0x00,0xc0,0xd5,0x01,0x01,0x01,0x02]

v_frexp_mant_f32_e64 v5, v255
// GFX1250: v_frexp_mant_f32_e64 v5, v255           ; encoding: [0x05,0x00,0xc0,0xd5,0xff,0x01,0x01,0x02]

v_frexp_mant_f32_e64 v5, s1
// GFX1250: v_frexp_mant_f32_e64 v5, s1             ; encoding: [0x05,0x00,0xc0,0xd5,0x01,0x00,0x01,0x02]

v_frexp_mant_f32_e64 v5, s105
// GFX1250: v_frexp_mant_f32_e64 v5, s105           ; encoding: [0x05,0x00,0xc0,0xd5,0x69,0x00,0x01,0x02]

v_frexp_mant_f32_e64 v5, vcc_lo
// GFX1250: v_frexp_mant_f32_e64 v5, vcc_lo         ; encoding: [0x05,0x00,0xc0,0xd5,0x6a,0x00,0x01,0x02]

v_frexp_mant_f32_e64 v5, vcc_hi
// GFX1250: v_frexp_mant_f32_e64 v5, vcc_hi         ; encoding: [0x05,0x00,0xc0,0xd5,0x6b,0x00,0x01,0x02]

v_frexp_mant_f32_e64 v5, ttmp15
// GFX1250: v_frexp_mant_f32_e64 v5, ttmp15         ; encoding: [0x05,0x00,0xc0,0xd5,0x7b,0x00,0x01,0x02]

v_frexp_mant_f32_e64 v5, m0
// GFX1250: v_frexp_mant_f32_e64 v5, m0             ; encoding: [0x05,0x00,0xc0,0xd5,0x7d,0x00,0x01,0x02]

v_frexp_mant_f32_e64 v5, exec_lo
// GFX1250: v_frexp_mant_f32_e64 v5, exec_lo        ; encoding: [0x05,0x00,0xc0,0xd5,0x7e,0x00,0x01,0x02]

v_frexp_mant_f32_e64 v5, exec_hi
// GFX1250: v_frexp_mant_f32_e64 v5, exec_hi        ; encoding: [0x05,0x00,0xc0,0xd5,0x7f,0x00,0x01,0x02]

v_frexp_mant_f32_e64 v5, null
// GFX1250: v_frexp_mant_f32_e64 v5, null           ; encoding: [0x05,0x00,0xc0,0xd5,0x7c,0x00,0x01,0x02]

v_frexp_mant_f32_e64 v5, -1
// GFX1250: v_frexp_mant_f32_e64 v5, -1             ; encoding: [0x05,0x00,0xc0,0xd5,0xc1,0x00,0x01,0x02]

v_frexp_mant_f32_e64 v5, 0.5 mul:2
// GFX1250: v_frexp_mant_f32_e64 v5, 0.5 mul:2      ; encoding: [0x05,0x00,0xc0,0xd5,0xf0,0x00,0x01,0x0a]

v_frexp_mant_f32_e64 v5, src_scc mul:4
// GFX1250: v_frexp_mant_f32_e64 v5, src_scc mul:4  ; encoding: [0x05,0x00,0xc0,0xd5,0xfd,0x00,0x01,0x12]

v_frexp_mant_f32_e64 v255, -|0xaf123456| clamp div:2
// GFX1250: v_frexp_mant_f32_e64 v255, -|0xaf123456| clamp div:2 ; encoding: [0xff,0x81,0xc0,0xd5,0xff,0x00,0x01,0x3a,0x56,0x34,0x12,0xaf]

v_frexp_mant_f64_e64 v[6:7], v[2:3]
// GFX1250: v_frexp_mant_f64_e64 v[6:7], v[2:3]     ; encoding: [0x06,0x00,0xbd,0xd5,0x02,0x01,0x01,0x02]

v_frexp_mant_f64_e64 v[6:7], v[254:255]
// GFX1250: v_frexp_mant_f64_e64 v[6:7], v[254:255] ; encoding: [0x06,0x00,0xbd,0xd5,0xfe,0x01,0x01,0x02]

v_frexp_mant_f64_e64 v[6:7], s[2:3]
// GFX1250: v_frexp_mant_f64_e64 v[6:7], s[2:3]     ; encoding: [0x06,0x00,0xbd,0xd5,0x02,0x00,0x01,0x02]

v_frexp_mant_f64_e64 v[6:7], s[104:105]
// GFX1250: v_frexp_mant_f64_e64 v[6:7], s[104:105] ; encoding: [0x06,0x00,0xbd,0xd5,0x68,0x00,0x01,0x02]

v_frexp_mant_f64_e64 v[6:7], vcc
// GFX1250: v_frexp_mant_f64_e64 v[6:7], vcc        ; encoding: [0x06,0x00,0xbd,0xd5,0x6a,0x00,0x01,0x02]

v_frexp_mant_f64_e64 v[6:7], ttmp[14:15]
// GFX1250: v_frexp_mant_f64_e64 v[6:7], ttmp[14:15] ; encoding: [0x06,0x00,0xbd,0xd5,0x7a,0x00,0x01,0x02]

v_frexp_mant_f64_e64 v[6:7], exec
// GFX1250: v_frexp_mant_f64_e64 v[6:7], exec       ; encoding: [0x06,0x00,0xbd,0xd5,0x7e,0x00,0x01,0x02]

v_frexp_mant_f64_e64 v[6:7], null
// GFX1250: v_frexp_mant_f64_e64 v[6:7], null       ; encoding: [0x06,0x00,0xbd,0xd5,0x7c,0x00,0x01,0x02]

v_frexp_mant_f64_e64 v[6:7], -1
// GFX1250: v_frexp_mant_f64_e64 v[6:7], -1         ; encoding: [0x06,0x00,0xbd,0xd5,0xc1,0x00,0x01,0x02]

v_frexp_mant_f64_e64 v[6:7], 0.5 mul:2
// GFX1250: v_frexp_mant_f64_e64 v[6:7], 0.5 mul:2  ; encoding: [0x06,0x00,0xbd,0xd5,0xf0,0x00,0x01,0x0a]

v_frexp_mant_f64_e64 v[6:7], -|src_scc| mul:4
// GFX1250: v_frexp_mant_f64_e64 v[6:7], -|src_scc| mul:4 ; encoding: [0x06,0x01,0xbd,0xd5,0xfd,0x00,0x01,0x32]

v_frexp_mant_f64_e64 v[254:255], 0xaf123456 clamp div:2
// GFX1250: v_frexp_mant_f64_e64 v[254:255], 0xaf123456 clamp div:2 ; encoding: [0xfe,0x80,0xbd,0xd5,0xff,0x00,0x01,0x1a,0x56,0x34,0x12,0xaf]

v_log_f16_e64 v5, v1
// GFX1250: v_log_f16_e64 v5, v1                    ; encoding: [0x05,0x00,0xd7,0xd5,0x01,0x01,0x01,0x02]

v_log_f16_e64 v5, v255
// GFX1250: v_log_f16_e64 v5, v255                  ; encoding: [0x05,0x00,0xd7,0xd5,0xff,0x01,0x01,0x02]

v_log_f16_e64 v5, s1
// GFX1250: v_log_f16_e64 v5, s1                    ; encoding: [0x05,0x00,0xd7,0xd5,0x01,0x00,0x01,0x02]

v_log_f16_e64 v5, s105
// GFX1250: v_log_f16_e64 v5, s105                  ; encoding: [0x05,0x00,0xd7,0xd5,0x69,0x00,0x01,0x02]

v_log_f16_e64 v5, vcc_lo
// GFX1250: v_log_f16_e64 v5, vcc_lo                ; encoding: [0x05,0x00,0xd7,0xd5,0x6a,0x00,0x01,0x02]

v_log_f16_e64 v5, vcc_hi
// GFX1250: v_log_f16_e64 v5, vcc_hi                ; encoding: [0x05,0x00,0xd7,0xd5,0x6b,0x00,0x01,0x02]

v_log_f16_e64 v5, ttmp15
// GFX1250: v_log_f16_e64 v5, ttmp15                ; encoding: [0x05,0x00,0xd7,0xd5,0x7b,0x00,0x01,0x02]

v_log_f16_e64 v5, m0
// GFX1250: v_log_f16_e64 v5, m0                    ; encoding: [0x05,0x00,0xd7,0xd5,0x7d,0x00,0x01,0x02]

v_log_f16_e64 v5, exec_lo
// GFX1250: v_log_f16_e64 v5, exec_lo               ; encoding: [0x05,0x00,0xd7,0xd5,0x7e,0x00,0x01,0x02]

v_log_f16_e64 v5, exec_hi
// GFX1250: v_log_f16_e64 v5, exec_hi               ; encoding: [0x05,0x00,0xd7,0xd5,0x7f,0x00,0x01,0x02]

v_log_f16_e64 v5, null
// GFX1250: v_log_f16_e64 v5, null                  ; encoding: [0x05,0x00,0xd7,0xd5,0x7c,0x00,0x01,0x02]

v_log_f16_e64 v5, -1
// GFX1250: v_log_f16_e64 v5, -1                    ; encoding: [0x05,0x00,0xd7,0xd5,0xc1,0x00,0x01,0x02]

v_log_f16_e64 v5, 0.5 mul:2
// GFX1250: v_log_f16_e64 v5, 0.5 mul:2             ; encoding: [0x05,0x00,0xd7,0xd5,0xf0,0x00,0x01,0x0a]

v_log_f16_e64 v5, src_scc mul:4
// GFX1250: v_log_f16_e64 v5, src_scc mul:4         ; encoding: [0x05,0x00,0xd7,0xd5,0xfd,0x00,0x01,0x12]

v_log_f16_e64 v255, -|0xfe0b| clamp div:2
// GFX1250: v_log_f16_e64 v255, -|0xfe0b| clamp div:2 ; encoding: [0xff,0x81,0xd7,0xd5,0xff,0x00,0x01,0x3a,0x0b,0xfe,0x00,0x00]

v_log_f32_e64 v5, v1
// GFX1250: v_log_f32_e64 v5, v1                    ; encoding: [0x05,0x00,0xa7,0xd5,0x01,0x01,0x01,0x02]

v_log_f32_e64 v5, v255
// GFX1250: v_log_f32_e64 v5, v255                  ; encoding: [0x05,0x00,0xa7,0xd5,0xff,0x01,0x01,0x02]

v_log_f32_e64 v5, s1
// GFX1250: v_log_f32_e64 v5, s1                    ; encoding: [0x05,0x00,0xa7,0xd5,0x01,0x00,0x01,0x02]

v_log_f32_e64 v5, s105
// GFX1250: v_log_f32_e64 v5, s105                  ; encoding: [0x05,0x00,0xa7,0xd5,0x69,0x00,0x01,0x02]

v_log_f32_e64 v5, vcc_lo
// GFX1250: v_log_f32_e64 v5, vcc_lo                ; encoding: [0x05,0x00,0xa7,0xd5,0x6a,0x00,0x01,0x02]

v_log_f32_e64 v5, vcc_hi
// GFX1250: v_log_f32_e64 v5, vcc_hi                ; encoding: [0x05,0x00,0xa7,0xd5,0x6b,0x00,0x01,0x02]

v_log_f32_e64 v5, ttmp15
// GFX1250: v_log_f32_e64 v5, ttmp15                ; encoding: [0x05,0x00,0xa7,0xd5,0x7b,0x00,0x01,0x02]

v_log_f32_e64 v5, m0
// GFX1250: v_log_f32_e64 v5, m0                    ; encoding: [0x05,0x00,0xa7,0xd5,0x7d,0x00,0x01,0x02]

v_log_f32_e64 v5, exec_lo
// GFX1250: v_log_f32_e64 v5, exec_lo               ; encoding: [0x05,0x00,0xa7,0xd5,0x7e,0x00,0x01,0x02]

v_log_f32_e64 v5, exec_hi
// GFX1250: v_log_f32_e64 v5, exec_hi               ; encoding: [0x05,0x00,0xa7,0xd5,0x7f,0x00,0x01,0x02]

v_log_f32_e64 v5, null
// GFX1250: v_log_f32_e64 v5, null                  ; encoding: [0x05,0x00,0xa7,0xd5,0x7c,0x00,0x01,0x02]

v_log_f32_e64 v5, -1
// GFX1250: v_log_f32_e64 v5, -1                    ; encoding: [0x05,0x00,0xa7,0xd5,0xc1,0x00,0x01,0x02]

v_log_f32_e64 v5, 0.5 mul:2
// GFX1250: v_log_f32_e64 v5, 0.5 mul:2             ; encoding: [0x05,0x00,0xa7,0xd5,0xf0,0x00,0x01,0x0a]

v_log_f32_e64 v5, src_scc mul:4
// GFX1250: v_log_f32_e64 v5, src_scc mul:4         ; encoding: [0x05,0x00,0xa7,0xd5,0xfd,0x00,0x01,0x12]

v_log_f32_e64 v255, -|0xaf123456| clamp div:2
// GFX1250: v_log_f32_e64 v255, -|0xaf123456| clamp div:2 ; encoding: [0xff,0x81,0xa7,0xd5,0xff,0x00,0x01,0x3a,0x56,0x34,0x12,0xaf]

v_mov_b32_e64 v5, v1
// GFX1250: v_mov_b32_e64 v5, v1                    ; encoding: [0x05,0x00,0x81,0xd5,0x01,0x01,0x01,0x02]

v_mov_b32_e64 v5, v255
// GFX1250: v_mov_b32_e64 v5, v255                  ; encoding: [0x05,0x00,0x81,0xd5,0xff,0x01,0x01,0x02]

v_mov_b32_e64 v5, s1
// GFX1250: v_mov_b32_e64 v5, s1                    ; encoding: [0x05,0x00,0x81,0xd5,0x01,0x00,0x01,0x02]

v_mov_b32_e64 v5, s105
// GFX1250: v_mov_b32_e64 v5, s105                  ; encoding: [0x05,0x00,0x81,0xd5,0x69,0x00,0x01,0x02]

v_mov_b32_e64 v5, vcc_lo
// GFX1250: v_mov_b32_e64 v5, vcc_lo                ; encoding: [0x05,0x00,0x81,0xd5,0x6a,0x00,0x01,0x02]

v_mov_b32_e64 v5, vcc_hi
// GFX1250: v_mov_b32_e64 v5, vcc_hi                ; encoding: [0x05,0x00,0x81,0xd5,0x6b,0x00,0x01,0x02]

v_mov_b32_e64 v5, ttmp15
// GFX1250: v_mov_b32_e64 v5, ttmp15                ; encoding: [0x05,0x00,0x81,0xd5,0x7b,0x00,0x01,0x02]

v_mov_b32_e64 v5, m0
// GFX1250: v_mov_b32_e64 v5, m0                    ; encoding: [0x05,0x00,0x81,0xd5,0x7d,0x00,0x01,0x02]

v_mov_b32_e64 v5, exec_lo
// GFX1250: v_mov_b32_e64 v5, exec_lo               ; encoding: [0x05,0x00,0x81,0xd5,0x7e,0x00,0x01,0x02]

v_mov_b32_e64 v5, exec_hi
// GFX1250: v_mov_b32_e64 v5, exec_hi               ; encoding: [0x05,0x00,0x81,0xd5,0x7f,0x00,0x01,0x02]

v_mov_b32_e64 v5, null
// GFX1250: v_mov_b32_e64 v5, null                  ; encoding: [0x05,0x00,0x81,0xd5,0x7c,0x00,0x01,0x02]

v_mov_b32_e64 v5, -1
// GFX1250: v_mov_b32_e64 v5, -1                    ; encoding: [0x05,0x00,0x81,0xd5,0xc1,0x00,0x01,0x02]

v_mov_b32_e64 v5, 0.5
// GFX1250: v_mov_b32_e64 v5, 0.5                   ; encoding: [0x05,0x00,0x81,0xd5,0xf0,0x00,0x01,0x02]

v_mov_b32_e64 v5, src_scc
// GFX1250: v_mov_b32_e64 v5, src_scc               ; encoding: [0x05,0x00,0x81,0xd5,0xfd,0x00,0x01,0x02]

v_mov_b32_e64 v255, 0xaf123456
// GFX1250: v_mov_b32_e64 v255, 0xaf123456          ; encoding: [0xff,0x00,0x81,0xd5,0xff,0x00,0x01,0x02,0x56,0x34,0x12,0xaf]

v_movreld_b32_e64 v5, v1
// GFX1250: v_movreld_b32_e64 v5, v1                ; encoding: [0x05,0x00,0xc2,0xd5,0x01,0x01,0x01,0x02]

v_movreld_b32_e64 v5, v255
// GFX1250: v_movreld_b32_e64 v5, v255              ; encoding: [0x05,0x00,0xc2,0xd5,0xff,0x01,0x01,0x02]

v_movreld_b32_e64 v5, s1
// GFX1250: v_movreld_b32_e64 v5, s1                ; encoding: [0x05,0x00,0xc2,0xd5,0x01,0x00,0x01,0x02]

v_movreld_b32_e64 v5, s105
// GFX1250: v_movreld_b32_e64 v5, s105              ; encoding: [0x05,0x00,0xc2,0xd5,0x69,0x00,0x01,0x02]

v_movreld_b32_e64 v5, vcc_lo
// GFX1250: v_movreld_b32_e64 v5, vcc_lo            ; encoding: [0x05,0x00,0xc2,0xd5,0x6a,0x00,0x01,0x02]

v_movreld_b32_e64 v5, vcc_hi
// GFX1250: v_movreld_b32_e64 v5, vcc_hi            ; encoding: [0x05,0x00,0xc2,0xd5,0x6b,0x00,0x01,0x02]

v_movreld_b32_e64 v5, ttmp15
// GFX1250: v_movreld_b32_e64 v5, ttmp15            ; encoding: [0x05,0x00,0xc2,0xd5,0x7b,0x00,0x01,0x02]

v_movreld_b32_e64 v5, m0
// GFX1250: v_movreld_b32_e64 v5, m0                ; encoding: [0x05,0x00,0xc2,0xd5,0x7d,0x00,0x01,0x02]

v_movreld_b32_e64 v5, exec_lo
// GFX1250: v_movreld_b32_e64 v5, exec_lo           ; encoding: [0x05,0x00,0xc2,0xd5,0x7e,0x00,0x01,0x02]

v_movreld_b32_e64 v5, exec_hi
// GFX1250: v_movreld_b32_e64 v5, exec_hi           ; encoding: [0x05,0x00,0xc2,0xd5,0x7f,0x00,0x01,0x02]

v_movreld_b32_e64 v5, null
// GFX1250: v_movreld_b32_e64 v5, null              ; encoding: [0x05,0x00,0xc2,0xd5,0x7c,0x00,0x01,0x02]

v_movreld_b32_e64 v5, -1
// GFX1250: v_movreld_b32_e64 v5, -1                ; encoding: [0x05,0x00,0xc2,0xd5,0xc1,0x00,0x01,0x02]

v_movreld_b32_e64 v5, 0.5
// GFX1250: v_movreld_b32_e64 v5, 0.5               ; encoding: [0x05,0x00,0xc2,0xd5,0xf0,0x00,0x01,0x02]

v_movreld_b32_e64 v5, src_scc
// GFX1250: v_movreld_b32_e64 v5, src_scc           ; encoding: [0x05,0x00,0xc2,0xd5,0xfd,0x00,0x01,0x02]

v_movreld_b32_e64 v255, 0xaf123456
// GFX1250: v_movreld_b32_e64 v255, 0xaf123456      ; encoding: [0xff,0x00,0xc2,0xd5,0xff,0x00,0x01,0x02,0x56,0x34,0x12,0xaf]

v_movrels_b32_e64 v5, v1
// GFX1250: v_movrels_b32_e64 v5, v1                ; encoding: [0x05,0x00,0xc3,0xd5,0x01,0x01,0x01,0x02]

v_movrels_b32_e64 v255, v255
// GFX1250: v_movrels_b32_e64 v255, v255            ; encoding: [0xff,0x00,0xc3,0xd5,0xff,0x01,0x01,0x02]

v_movrelsd_2_b32_e64 v5, v1
// GFX1250: v_movrelsd_2_b32_e64 v5, v1             ; encoding: [0x05,0x00,0xc8,0xd5,0x01,0x01,0x01,0x02]

v_movrelsd_2_b32_e64 v255, v255
// GFX1250: v_movrelsd_2_b32_e64 v255, v255         ; encoding: [0xff,0x00,0xc8,0xd5,0xff,0x01,0x01,0x02]

v_movrelsd_b32_e64 v5, v1
// GFX1250: v_movrelsd_b32_e64 v5, v1               ; encoding: [0x05,0x00,0xc4,0xd5,0x01,0x01,0x01,0x02]

v_movrelsd_b32_e64 v255, v255
// GFX1250: v_movrelsd_b32_e64 v255, v255           ; encoding: [0xff,0x00,0xc4,0xd5,0xff,0x01,0x01,0x02]

v_nop_e64
// GFX1250: v_nop                                   ; encoding: [0x00,0x00,0x80,0xd5,0x80,0x00,0x01,0x02]

v_not_b16_e64 v5, v1
// GFX1250: v_not_b16_e64 v5, v1                    ; encoding: [0x05,0x00,0xe9,0xd5,0x01,0x01,0x01,0x02]

v_not_b16_e64 v5, v255
// GFX1250: v_not_b16_e64 v5, v255                  ; encoding: [0x05,0x00,0xe9,0xd5,0xff,0x01,0x01,0x02]

v_not_b16_e64 v5, s1
// GFX1250: v_not_b16_e64 v5, s1                    ; encoding: [0x05,0x00,0xe9,0xd5,0x01,0x00,0x01,0x02]

v_not_b16_e64 v5, s105
// GFX1250: v_not_b16_e64 v5, s105                  ; encoding: [0x05,0x00,0xe9,0xd5,0x69,0x00,0x01,0x02]

v_not_b16_e64 v5, vcc_lo
// GFX1250: v_not_b16_e64 v5, vcc_lo                ; encoding: [0x05,0x00,0xe9,0xd5,0x6a,0x00,0x01,0x02]

v_not_b16_e64 v5, vcc_hi
// GFX1250: v_not_b16_e64 v5, vcc_hi                ; encoding: [0x05,0x00,0xe9,0xd5,0x6b,0x00,0x01,0x02]

v_not_b16_e64 v5, ttmp15
// GFX1250: v_not_b16_e64 v5, ttmp15                ; encoding: [0x05,0x00,0xe9,0xd5,0x7b,0x00,0x01,0x02]

v_not_b16_e64 v5, m0
// GFX1250: v_not_b16_e64 v5, m0                    ; encoding: [0x05,0x00,0xe9,0xd5,0x7d,0x00,0x01,0x02]

v_not_b16_e64 v5, exec_lo
// GFX1250: v_not_b16_e64 v5, exec_lo               ; encoding: [0x05,0x00,0xe9,0xd5,0x7e,0x00,0x01,0x02]

v_not_b16_e64 v5, exec_hi
// GFX1250: v_not_b16_e64 v5, exec_hi               ; encoding: [0x05,0x00,0xe9,0xd5,0x7f,0x00,0x01,0x02]

v_not_b16_e64 v5, null
// GFX1250: v_not_b16_e64 v5, null                  ; encoding: [0x05,0x00,0xe9,0xd5,0x7c,0x00,0x01,0x02]

v_not_b16_e64 v5, -1
// GFX1250: v_not_b16_e64 v5, -1                    ; encoding: [0x05,0x00,0xe9,0xd5,0xc1,0x00,0x01,0x02]

v_not_b16_e64 v5, 0.5
// GFX1250: v_not_b16_e64 v5, 0.5                   ; encoding: [0x05,0x00,0xe9,0xd5,0xf0,0x00,0x01,0x02]

v_not_b16_e64 v5, src_scc
// GFX1250: v_not_b16_e64 v5, src_scc               ; encoding: [0x05,0x00,0xe9,0xd5,0xfd,0x00,0x01,0x02]

v_not_b16_e64 v255, 0xfe0b
// GFX1250: v_not_b16_e64 v255, 0xfe0b              ; encoding: [0xff,0x00,0xe9,0xd5,0xff,0x00,0x01,0x02,0x0b,0xfe,0x00,0x00]

v_not_b32_e64 v5, v1
// GFX1250: v_not_b32_e64 v5, v1                    ; encoding: [0x05,0x00,0xb7,0xd5,0x01,0x01,0x01,0x02]

v_not_b32_e64 v5, v255
// GFX1250: v_not_b32_e64 v5, v255                  ; encoding: [0x05,0x00,0xb7,0xd5,0xff,0x01,0x01,0x02]

v_not_b32_e64 v5, s1
// GFX1250: v_not_b32_e64 v5, s1                    ; encoding: [0x05,0x00,0xb7,0xd5,0x01,0x00,0x01,0x02]

v_not_b32_e64 v5, s105
// GFX1250: v_not_b32_e64 v5, s105                  ; encoding: [0x05,0x00,0xb7,0xd5,0x69,0x00,0x01,0x02]

v_not_b32_e64 v5, vcc_lo
// GFX1250: v_not_b32_e64 v5, vcc_lo                ; encoding: [0x05,0x00,0xb7,0xd5,0x6a,0x00,0x01,0x02]

v_not_b32_e64 v5, vcc_hi
// GFX1250: v_not_b32_e64 v5, vcc_hi                ; encoding: [0x05,0x00,0xb7,0xd5,0x6b,0x00,0x01,0x02]

v_not_b32_e64 v5, ttmp15
// GFX1250: v_not_b32_e64 v5, ttmp15                ; encoding: [0x05,0x00,0xb7,0xd5,0x7b,0x00,0x01,0x02]

v_not_b32_e64 v5, m0
// GFX1250: v_not_b32_e64 v5, m0                    ; encoding: [0x05,0x00,0xb7,0xd5,0x7d,0x00,0x01,0x02]

v_not_b32_e64 v5, exec_lo
// GFX1250: v_not_b32_e64 v5, exec_lo               ; encoding: [0x05,0x00,0xb7,0xd5,0x7e,0x00,0x01,0x02]

v_not_b32_e64 v5, exec_hi
// GFX1250: v_not_b32_e64 v5, exec_hi               ; encoding: [0x05,0x00,0xb7,0xd5,0x7f,0x00,0x01,0x02]

v_not_b32_e64 v5, null
// GFX1250: v_not_b32_e64 v5, null                  ; encoding: [0x05,0x00,0xb7,0xd5,0x7c,0x00,0x01,0x02]

v_not_b32_e64 v5, -1
// GFX1250: v_not_b32_e64 v5, -1                    ; encoding: [0x05,0x00,0xb7,0xd5,0xc1,0x00,0x01,0x02]

v_not_b32_e64 v5, 0.5
// GFX1250: v_not_b32_e64 v5, 0.5                   ; encoding: [0x05,0x00,0xb7,0xd5,0xf0,0x00,0x01,0x02]

v_not_b32_e64 v5, src_scc
// GFX1250: v_not_b32_e64 v5, src_scc               ; encoding: [0x05,0x00,0xb7,0xd5,0xfd,0x00,0x01,0x02]

v_not_b32_e64 v255, 0xaf123456
// GFX1250: v_not_b32_e64 v255, 0xaf123456          ; encoding: [0xff,0x00,0xb7,0xd5,0xff,0x00,0x01,0x02,0x56,0x34,0x12,0xaf]

v_pipeflush_e64
// GFX1250: v_pipeflush                             ; encoding: [0x00,0x00,0x9b,0xd5,0x80,0x00,0x01,0x02]

v_rcp_f16_e64 v5, v1
// GFX1250: v_rcp_f16_e64 v5, v1                    ; encoding: [0x05,0x00,0xd4,0xd5,0x01,0x01,0x01,0x02]

v_rcp_f16_e64 v5, v255
// GFX1250: v_rcp_f16_e64 v5, v255                  ; encoding: [0x05,0x00,0xd4,0xd5,0xff,0x01,0x01,0x02]

v_rcp_f16_e64 v5, s1
// GFX1250: v_rcp_f16_e64 v5, s1                    ; encoding: [0x05,0x00,0xd4,0xd5,0x01,0x00,0x01,0x02]

v_rcp_f16_e64 v5, s105
// GFX1250: v_rcp_f16_e64 v5, s105                  ; encoding: [0x05,0x00,0xd4,0xd5,0x69,0x00,0x01,0x02]

v_rcp_f16_e64 v5, vcc_lo
// GFX1250: v_rcp_f16_e64 v5, vcc_lo                ; encoding: [0x05,0x00,0xd4,0xd5,0x6a,0x00,0x01,0x02]

v_rcp_f16_e64 v5, vcc_hi
// GFX1250: v_rcp_f16_e64 v5, vcc_hi                ; encoding: [0x05,0x00,0xd4,0xd5,0x6b,0x00,0x01,0x02]

v_rcp_f16_e64 v5, ttmp15
// GFX1250: v_rcp_f16_e64 v5, ttmp15                ; encoding: [0x05,0x00,0xd4,0xd5,0x7b,0x00,0x01,0x02]

v_rcp_f16_e64 v5, m0
// GFX1250: v_rcp_f16_e64 v5, m0                    ; encoding: [0x05,0x00,0xd4,0xd5,0x7d,0x00,0x01,0x02]

v_rcp_f16_e64 v5, exec_lo
// GFX1250: v_rcp_f16_e64 v5, exec_lo               ; encoding: [0x05,0x00,0xd4,0xd5,0x7e,0x00,0x01,0x02]

v_rcp_f16_e64 v5, exec_hi
// GFX1250: v_rcp_f16_e64 v5, exec_hi               ; encoding: [0x05,0x00,0xd4,0xd5,0x7f,0x00,0x01,0x02]

v_rcp_f16_e64 v5, null
// GFX1250: v_rcp_f16_e64 v5, null                  ; encoding: [0x05,0x00,0xd4,0xd5,0x7c,0x00,0x01,0x02]

v_rcp_f16_e64 v5, -1
// GFX1250: v_rcp_f16_e64 v5, -1                    ; encoding: [0x05,0x00,0xd4,0xd5,0xc1,0x00,0x01,0x02]

v_rcp_f16_e64 v5, 0.5 mul:2
// GFX1250: v_rcp_f16_e64 v5, 0.5 mul:2             ; encoding: [0x05,0x00,0xd4,0xd5,0xf0,0x00,0x01,0x0a]

v_rcp_f16_e64 v5, src_scc mul:4
// GFX1250: v_rcp_f16_e64 v5, src_scc mul:4         ; encoding: [0x05,0x00,0xd4,0xd5,0xfd,0x00,0x01,0x12]

v_rcp_f16_e64 v255, -|0xfe0b| clamp div:2
// GFX1250: v_rcp_f16_e64 v255, -|0xfe0b| clamp div:2 ; encoding: [0xff,0x81,0xd4,0xd5,0xff,0x00,0x01,0x3a,0x0b,0xfe,0x00,0x00]

v_rcp_f32_e64 v5, v1
// GFX1250: v_rcp_f32_e64 v5, v1                    ; encoding: [0x05,0x00,0xaa,0xd5,0x01,0x01,0x01,0x02]

v_rcp_f32_e64 v5, v255
// GFX1250: v_rcp_f32_e64 v5, v255                  ; encoding: [0x05,0x00,0xaa,0xd5,0xff,0x01,0x01,0x02]

v_rcp_f32_e64 v5, s1
// GFX1250: v_rcp_f32_e64 v5, s1                    ; encoding: [0x05,0x00,0xaa,0xd5,0x01,0x00,0x01,0x02]

v_rcp_f32_e64 v5, s105
// GFX1250: v_rcp_f32_e64 v5, s105                  ; encoding: [0x05,0x00,0xaa,0xd5,0x69,0x00,0x01,0x02]

v_rcp_f32_e64 v5, vcc_lo
// GFX1250: v_rcp_f32_e64 v5, vcc_lo                ; encoding: [0x05,0x00,0xaa,0xd5,0x6a,0x00,0x01,0x02]

v_rcp_f32_e64 v5, vcc_hi
// GFX1250: v_rcp_f32_e64 v5, vcc_hi                ; encoding: [0x05,0x00,0xaa,0xd5,0x6b,0x00,0x01,0x02]

v_rcp_f32_e64 v5, ttmp15
// GFX1250: v_rcp_f32_e64 v5, ttmp15                ; encoding: [0x05,0x00,0xaa,0xd5,0x7b,0x00,0x01,0x02]

v_rcp_f32_e64 v5, m0
// GFX1250: v_rcp_f32_e64 v5, m0                    ; encoding: [0x05,0x00,0xaa,0xd5,0x7d,0x00,0x01,0x02]

v_rcp_f32_e64 v5, exec_lo
// GFX1250: v_rcp_f32_e64 v5, exec_lo               ; encoding: [0x05,0x00,0xaa,0xd5,0x7e,0x00,0x01,0x02]

v_rcp_f32_e64 v5, exec_hi
// GFX1250: v_rcp_f32_e64 v5, exec_hi               ; encoding: [0x05,0x00,0xaa,0xd5,0x7f,0x00,0x01,0x02]

v_rcp_f32_e64 v5, null
// GFX1250: v_rcp_f32_e64 v5, null                  ; encoding: [0x05,0x00,0xaa,0xd5,0x7c,0x00,0x01,0x02]

v_rcp_f32_e64 v5, -1
// GFX1250: v_rcp_f32_e64 v5, -1                    ; encoding: [0x05,0x00,0xaa,0xd5,0xc1,0x00,0x01,0x02]

v_rcp_f32_e64 v5, 0.5 mul:2
// GFX1250: v_rcp_f32_e64 v5, 0.5 mul:2             ; encoding: [0x05,0x00,0xaa,0xd5,0xf0,0x00,0x01,0x0a]

v_rcp_f32_e64 v5, src_scc mul:4
// GFX1250: v_rcp_f32_e64 v5, src_scc mul:4         ; encoding: [0x05,0x00,0xaa,0xd5,0xfd,0x00,0x01,0x12]

v_rcp_f32_e64 v255, -|0xaf123456| clamp div:2
// GFX1250: v_rcp_f32_e64 v255, -|0xaf123456| clamp div:2 ; encoding: [0xff,0x81,0xaa,0xd5,0xff,0x00,0x01,0x3a,0x56,0x34,0x12,0xaf]

v_rcp_f64_e64 v[6:7], v[2:3]
// GFX1250: v_rcp_f64_e64 v[6:7], v[2:3]            ; encoding: [0x06,0x00,0xaf,0xd5,0x02,0x01,0x01,0x02]

v_rcp_f64_e64 v[6:7], v[254:255]
// GFX1250: v_rcp_f64_e64 v[6:7], v[254:255]        ; encoding: [0x06,0x00,0xaf,0xd5,0xfe,0x01,0x01,0x02]

v_rcp_f64_e64 v[6:7], s[2:3]
// GFX1250: v_rcp_f64_e64 v[6:7], s[2:3]            ; encoding: [0x06,0x00,0xaf,0xd5,0x02,0x00,0x01,0x02]

v_rcp_f64_e64 v[6:7], s[104:105]
// GFX1250: v_rcp_f64_e64 v[6:7], s[104:105]        ; encoding: [0x06,0x00,0xaf,0xd5,0x68,0x00,0x01,0x02]

v_rcp_f64_e64 v[6:7], vcc
// GFX1250: v_rcp_f64_e64 v[6:7], vcc               ; encoding: [0x06,0x00,0xaf,0xd5,0x6a,0x00,0x01,0x02]

v_rcp_f64_e64 v[6:7], ttmp[14:15]
// GFX1250: v_rcp_f64_e64 v[6:7], ttmp[14:15]       ; encoding: [0x06,0x00,0xaf,0xd5,0x7a,0x00,0x01,0x02]

v_rcp_f64_e64 v[6:7], exec
// GFX1250: v_rcp_f64_e64 v[6:7], exec              ; encoding: [0x06,0x00,0xaf,0xd5,0x7e,0x00,0x01,0x02]

v_rcp_f64_e64 v[6:7], null
// GFX1250: v_rcp_f64_e64 v[6:7], null              ; encoding: [0x06,0x00,0xaf,0xd5,0x7c,0x00,0x01,0x02]

v_rcp_f64_e64 v[6:7], -1
// GFX1250: v_rcp_f64_e64 v[6:7], -1                ; encoding: [0x06,0x00,0xaf,0xd5,0xc1,0x00,0x01,0x02]

v_rcp_f64_e64 v[6:7], 0.5 mul:2
// GFX1250: v_rcp_f64_e64 v[6:7], 0.5 mul:2         ; encoding: [0x06,0x00,0xaf,0xd5,0xf0,0x00,0x01,0x0a]

v_rcp_f64_e64 v[6:7], -|src_scc| mul:4
// GFX1250: v_rcp_f64_e64 v[6:7], -|src_scc| mul:4  ; encoding: [0x06,0x01,0xaf,0xd5,0xfd,0x00,0x01,0x32]

v_rcp_f64_e64 v[254:255], 0xaf123456 clamp div:2
// GFX1250: v_rcp_f64_e64 v[254:255], 0xaf123456 clamp div:2 ; encoding: [0xfe,0x80,0xaf,0xd5,0xff,0x00,0x01,0x1a,0x56,0x34,0x12,0xaf]

v_rcp_iflag_f32_e64 v5, v1
// GFX1250: v_rcp_iflag_f32_e64 v5, v1              ; encoding: [0x05,0x00,0xab,0xd5,0x01,0x01,0x01,0x02]

v_rcp_iflag_f32_e64 v5, v255
// GFX1250: v_rcp_iflag_f32_e64 v5, v255            ; encoding: [0x05,0x00,0xab,0xd5,0xff,0x01,0x01,0x02]

v_rcp_iflag_f32_e64 v5, s1
// GFX1250: v_rcp_iflag_f32_e64 v5, s1              ; encoding: [0x05,0x00,0xab,0xd5,0x01,0x00,0x01,0x02]

v_rcp_iflag_f32_e64 v5, s105
// GFX1250: v_rcp_iflag_f32_e64 v5, s105            ; encoding: [0x05,0x00,0xab,0xd5,0x69,0x00,0x01,0x02]

v_rcp_iflag_f32_e64 v5, vcc_lo
// GFX1250: v_rcp_iflag_f32_e64 v5, vcc_lo          ; encoding: [0x05,0x00,0xab,0xd5,0x6a,0x00,0x01,0x02]

v_rcp_iflag_f32_e64 v5, vcc_hi
// GFX1250: v_rcp_iflag_f32_e64 v5, vcc_hi          ; encoding: [0x05,0x00,0xab,0xd5,0x6b,0x00,0x01,0x02]

v_rcp_iflag_f32_e64 v5, ttmp15
// GFX1250: v_rcp_iflag_f32_e64 v5, ttmp15          ; encoding: [0x05,0x00,0xab,0xd5,0x7b,0x00,0x01,0x02]

v_rcp_iflag_f32_e64 v5, m0
// GFX1250: v_rcp_iflag_f32_e64 v5, m0              ; encoding: [0x05,0x00,0xab,0xd5,0x7d,0x00,0x01,0x02]

v_rcp_iflag_f32_e64 v5, exec_lo
// GFX1250: v_rcp_iflag_f32_e64 v5, exec_lo         ; encoding: [0x05,0x00,0xab,0xd5,0x7e,0x00,0x01,0x02]

v_rcp_iflag_f32_e64 v5, exec_hi
// GFX1250: v_rcp_iflag_f32_e64 v5, exec_hi         ; encoding: [0x05,0x00,0xab,0xd5,0x7f,0x00,0x01,0x02]

v_rcp_iflag_f32_e64 v5, null
// GFX1250: v_rcp_iflag_f32_e64 v5, null            ; encoding: [0x05,0x00,0xab,0xd5,0x7c,0x00,0x01,0x02]

v_rcp_iflag_f32_e64 v5, -1
// GFX1250: v_rcp_iflag_f32_e64 v5, -1              ; encoding: [0x05,0x00,0xab,0xd5,0xc1,0x00,0x01,0x02]

v_rcp_iflag_f32_e64 v5, 0.5 mul:2
// GFX1250: v_rcp_iflag_f32_e64 v5, 0.5 mul:2       ; encoding: [0x05,0x00,0xab,0xd5,0xf0,0x00,0x01,0x0a]

v_rcp_iflag_f32_e64 v5, src_scc mul:4
// GFX1250: v_rcp_iflag_f32_e64 v5, src_scc mul:4   ; encoding: [0x05,0x00,0xab,0xd5,0xfd,0x00,0x01,0x12]

v_rcp_iflag_f32_e64 v255, -|0xaf123456| clamp div:2
// GFX1250: v_rcp_iflag_f32_e64 v255, -|0xaf123456| clamp div:2 ; encoding: [0xff,0x81,0xab,0xd5,0xff,0x00,0x01,0x3a,0x56,0x34,0x12,0xaf]

v_rndne_f16_e64 v5, v1
// GFX1250: v_rndne_f16_e64 v5, v1                  ; encoding: [0x05,0x00,0xde,0xd5,0x01,0x01,0x01,0x02]

v_rndne_f16_e64 v5, v255
// GFX1250: v_rndne_f16_e64 v5, v255                ; encoding: [0x05,0x00,0xde,0xd5,0xff,0x01,0x01,0x02]

v_rndne_f16_e64 v5, s1
// GFX1250: v_rndne_f16_e64 v5, s1                  ; encoding: [0x05,0x00,0xde,0xd5,0x01,0x00,0x01,0x02]

v_rndne_f16_e64 v5, s105
// GFX1250: v_rndne_f16_e64 v5, s105                ; encoding: [0x05,0x00,0xde,0xd5,0x69,0x00,0x01,0x02]

v_rndne_f16_e64 v5, vcc_lo
// GFX1250: v_rndne_f16_e64 v5, vcc_lo              ; encoding: [0x05,0x00,0xde,0xd5,0x6a,0x00,0x01,0x02]

v_rndne_f16_e64 v5, vcc_hi
// GFX1250: v_rndne_f16_e64 v5, vcc_hi              ; encoding: [0x05,0x00,0xde,0xd5,0x6b,0x00,0x01,0x02]

v_rndne_f16_e64 v5, ttmp15
// GFX1250: v_rndne_f16_e64 v5, ttmp15              ; encoding: [0x05,0x00,0xde,0xd5,0x7b,0x00,0x01,0x02]

v_rndne_f16_e64 v5, m0
// GFX1250: v_rndne_f16_e64 v5, m0                  ; encoding: [0x05,0x00,0xde,0xd5,0x7d,0x00,0x01,0x02]

v_rndne_f16_e64 v5, exec_lo
// GFX1250: v_rndne_f16_e64 v5, exec_lo             ; encoding: [0x05,0x00,0xde,0xd5,0x7e,0x00,0x01,0x02]

v_rndne_f16_e64 v5, exec_hi
// GFX1250: v_rndne_f16_e64 v5, exec_hi             ; encoding: [0x05,0x00,0xde,0xd5,0x7f,0x00,0x01,0x02]

v_rndne_f16_e64 v5, null
// GFX1250: v_rndne_f16_e64 v5, null                ; encoding: [0x05,0x00,0xde,0xd5,0x7c,0x00,0x01,0x02]

v_rndne_f16_e64 v5, -1
// GFX1250: v_rndne_f16_e64 v5, -1                  ; encoding: [0x05,0x00,0xde,0xd5,0xc1,0x00,0x01,0x02]

v_rndne_f16_e64 v5, 0.5 mul:2
// GFX1250: v_rndne_f16_e64 v5, 0.5 mul:2           ; encoding: [0x05,0x00,0xde,0xd5,0xf0,0x00,0x01,0x0a]

v_rndne_f16_e64 v5, src_scc mul:4
// GFX1250: v_rndne_f16_e64 v5, src_scc mul:4       ; encoding: [0x05,0x00,0xde,0xd5,0xfd,0x00,0x01,0x12]

v_rndne_f16_e64 v255, -|0xfe0b| clamp div:2
// GFX1250: v_rndne_f16_e64 v255, -|0xfe0b| clamp div:2 ; encoding: [0xff,0x81,0xde,0xd5,0xff,0x00,0x01,0x3a,0x0b,0xfe,0x00,0x00]

v_rndne_f32_e64 v5, v1
// GFX1250: v_rndne_f32_e64 v5, v1                  ; encoding: [0x05,0x00,0xa3,0xd5,0x01,0x01,0x01,0x02]

v_rndne_f32_e64 v5, v255
// GFX1250: v_rndne_f32_e64 v5, v255                ; encoding: [0x05,0x00,0xa3,0xd5,0xff,0x01,0x01,0x02]

v_rndne_f32_e64 v5, s1
// GFX1250: v_rndne_f32_e64 v5, s1                  ; encoding: [0x05,0x00,0xa3,0xd5,0x01,0x00,0x01,0x02]

v_rndne_f32_e64 v5, s105
// GFX1250: v_rndne_f32_e64 v5, s105                ; encoding: [0x05,0x00,0xa3,0xd5,0x69,0x00,0x01,0x02]

v_rndne_f32_e64 v5, vcc_lo
// GFX1250: v_rndne_f32_e64 v5, vcc_lo              ; encoding: [0x05,0x00,0xa3,0xd5,0x6a,0x00,0x01,0x02]

v_rndne_f32_e64 v5, vcc_hi
// GFX1250: v_rndne_f32_e64 v5, vcc_hi              ; encoding: [0x05,0x00,0xa3,0xd5,0x6b,0x00,0x01,0x02]

v_rndne_f32_e64 v5, ttmp15
// GFX1250: v_rndne_f32_e64 v5, ttmp15              ; encoding: [0x05,0x00,0xa3,0xd5,0x7b,0x00,0x01,0x02]

v_rndne_f32_e64 v5, m0
// GFX1250: v_rndne_f32_e64 v5, m0                  ; encoding: [0x05,0x00,0xa3,0xd5,0x7d,0x00,0x01,0x02]

v_rndne_f32_e64 v5, exec_lo
// GFX1250: v_rndne_f32_e64 v5, exec_lo             ; encoding: [0x05,0x00,0xa3,0xd5,0x7e,0x00,0x01,0x02]

v_rndne_f32_e64 v5, exec_hi
// GFX1250: v_rndne_f32_e64 v5, exec_hi             ; encoding: [0x05,0x00,0xa3,0xd5,0x7f,0x00,0x01,0x02]

v_rndne_f32_e64 v5, null
// GFX1250: v_rndne_f32_e64 v5, null                ; encoding: [0x05,0x00,0xa3,0xd5,0x7c,0x00,0x01,0x02]

v_rndne_f32_e64 v5, -1
// GFX1250: v_rndne_f32_e64 v5, -1                  ; encoding: [0x05,0x00,0xa3,0xd5,0xc1,0x00,0x01,0x02]

v_rndne_f32_e64 v5, 0.5 mul:2
// GFX1250: v_rndne_f32_e64 v5, 0.5 mul:2           ; encoding: [0x05,0x00,0xa3,0xd5,0xf0,0x00,0x01,0x0a]

v_rndne_f32_e64 v5, src_scc mul:4
// GFX1250: v_rndne_f32_e64 v5, src_scc mul:4       ; encoding: [0x05,0x00,0xa3,0xd5,0xfd,0x00,0x01,0x12]

v_rndne_f32_e64 v255, -|0xaf123456| clamp div:2
// GFX1250: v_rndne_f32_e64 v255, -|0xaf123456| clamp div:2 ; encoding: [0xff,0x81,0xa3,0xd5,0xff,0x00,0x01,0x3a,0x56,0x34,0x12,0xaf]

v_rndne_f64_e64 v[6:7], v[2:3]
// GFX1250: v_rndne_f64_e64 v[6:7], v[2:3]          ; encoding: [0x06,0x00,0x99,0xd5,0x02,0x01,0x01,0x02]

v_rndne_f64_e64 v[6:7], v[254:255]
// GFX1250: v_rndne_f64_e64 v[6:7], v[254:255]      ; encoding: [0x06,0x00,0x99,0xd5,0xfe,0x01,0x01,0x02]

v_rndne_f64_e64 v[6:7], s[2:3]
// GFX1250: v_rndne_f64_e64 v[6:7], s[2:3]          ; encoding: [0x06,0x00,0x99,0xd5,0x02,0x00,0x01,0x02]

v_rndne_f64_e64 v[6:7], s[104:105]
// GFX1250: v_rndne_f64_e64 v[6:7], s[104:105]      ; encoding: [0x06,0x00,0x99,0xd5,0x68,0x00,0x01,0x02]

v_rndne_f64_e64 v[6:7], vcc
// GFX1250: v_rndne_f64_e64 v[6:7], vcc             ; encoding: [0x06,0x00,0x99,0xd5,0x6a,0x00,0x01,0x02]

v_rndne_f64_e64 v[6:7], ttmp[14:15]
// GFX1250: v_rndne_f64_e64 v[6:7], ttmp[14:15]     ; encoding: [0x06,0x00,0x99,0xd5,0x7a,0x00,0x01,0x02]

v_rndne_f64_e64 v[6:7], exec
// GFX1250: v_rndne_f64_e64 v[6:7], exec            ; encoding: [0x06,0x00,0x99,0xd5,0x7e,0x00,0x01,0x02]

v_rndne_f64_e64 v[6:7], null
// GFX1250: v_rndne_f64_e64 v[6:7], null            ; encoding: [0x06,0x00,0x99,0xd5,0x7c,0x00,0x01,0x02]

v_rndne_f64_e64 v[6:7], -1
// GFX1250: v_rndne_f64_e64 v[6:7], -1              ; encoding: [0x06,0x00,0x99,0xd5,0xc1,0x00,0x01,0x02]

v_rndne_f64_e64 v[6:7], 0.5 mul:2
// GFX1250: v_rndne_f64_e64 v[6:7], 0.5 mul:2       ; encoding: [0x06,0x00,0x99,0xd5,0xf0,0x00,0x01,0x0a]

v_rndne_f64_e64 v[6:7], -|src_scc| mul:4
// GFX1250: v_rndne_f64_e64 v[6:7], -|src_scc| mul:4 ; encoding: [0x06,0x01,0x99,0xd5,0xfd,0x00,0x01,0x32]

v_rndne_f64_e64 v[254:255], 0xaf123456 clamp div:2
// GFX1250: v_rndne_f64_e64 v[254:255], 0xaf123456 clamp div:2 ; encoding: [0xfe,0x80,0x99,0xd5,0xff,0x00,0x01,0x1a,0x56,0x34,0x12,0xaf]

v_rsq_f16_e64 v5, v1
// GFX1250: v_rsq_f16_e64 v5, v1                    ; encoding: [0x05,0x00,0xd6,0xd5,0x01,0x01,0x01,0x02]

v_rsq_f16_e64 v5, v255
// GFX1250: v_rsq_f16_e64 v5, v255                  ; encoding: [0x05,0x00,0xd6,0xd5,0xff,0x01,0x01,0x02]

v_rsq_f16_e64 v5, s1
// GFX1250: v_rsq_f16_e64 v5, s1                    ; encoding: [0x05,0x00,0xd6,0xd5,0x01,0x00,0x01,0x02]

v_rsq_f16_e64 v5, s105
// GFX1250: v_rsq_f16_e64 v5, s105                  ; encoding: [0x05,0x00,0xd6,0xd5,0x69,0x00,0x01,0x02]

v_rsq_f16_e64 v5, vcc_lo
// GFX1250: v_rsq_f16_e64 v5, vcc_lo                ; encoding: [0x05,0x00,0xd6,0xd5,0x6a,0x00,0x01,0x02]

v_rsq_f16_e64 v5, vcc_hi
// GFX1250: v_rsq_f16_e64 v5, vcc_hi                ; encoding: [0x05,0x00,0xd6,0xd5,0x6b,0x00,0x01,0x02]

v_rsq_f16_e64 v5, ttmp15
// GFX1250: v_rsq_f16_e64 v5, ttmp15                ; encoding: [0x05,0x00,0xd6,0xd5,0x7b,0x00,0x01,0x02]

v_rsq_f16_e64 v5, m0
// GFX1250: v_rsq_f16_e64 v5, m0                    ; encoding: [0x05,0x00,0xd6,0xd5,0x7d,0x00,0x01,0x02]

v_rsq_f16_e64 v5, exec_lo
// GFX1250: v_rsq_f16_e64 v5, exec_lo               ; encoding: [0x05,0x00,0xd6,0xd5,0x7e,0x00,0x01,0x02]

v_rsq_f16_e64 v5, exec_hi
// GFX1250: v_rsq_f16_e64 v5, exec_hi               ; encoding: [0x05,0x00,0xd6,0xd5,0x7f,0x00,0x01,0x02]

v_rsq_f16_e64 v5, null
// GFX1250: v_rsq_f16_e64 v5, null                  ; encoding: [0x05,0x00,0xd6,0xd5,0x7c,0x00,0x01,0x02]

v_rsq_f16_e64 v5, -1
// GFX1250: v_rsq_f16_e64 v5, -1                    ; encoding: [0x05,0x00,0xd6,0xd5,0xc1,0x00,0x01,0x02]

v_rsq_f16_e64 v5, 0.5 mul:2
// GFX1250: v_rsq_f16_e64 v5, 0.5 mul:2             ; encoding: [0x05,0x00,0xd6,0xd5,0xf0,0x00,0x01,0x0a]

v_rsq_f16_e64 v5, src_scc mul:4
// GFX1250: v_rsq_f16_e64 v5, src_scc mul:4         ; encoding: [0x05,0x00,0xd6,0xd5,0xfd,0x00,0x01,0x12]

v_rsq_f16_e64 v255, -|0xfe0b| clamp div:2
// GFX1250: v_rsq_f16_e64 v255, -|0xfe0b| clamp div:2 ; encoding: [0xff,0x81,0xd6,0xd5,0xff,0x00,0x01,0x3a,0x0b,0xfe,0x00,0x00]

v_rsq_f32_e64 v5, v1
// GFX1250: v_rsq_f32_e64 v5, v1                    ; encoding: [0x05,0x00,0xae,0xd5,0x01,0x01,0x01,0x02]

v_rsq_f32_e64 v5, v255
// GFX1250: v_rsq_f32_e64 v5, v255                  ; encoding: [0x05,0x00,0xae,0xd5,0xff,0x01,0x01,0x02]

v_rsq_f32_e64 v5, s1
// GFX1250: v_rsq_f32_e64 v5, s1                    ; encoding: [0x05,0x00,0xae,0xd5,0x01,0x00,0x01,0x02]

v_rsq_f32_e64 v5, s105
// GFX1250: v_rsq_f32_e64 v5, s105                  ; encoding: [0x05,0x00,0xae,0xd5,0x69,0x00,0x01,0x02]

v_rsq_f32_e64 v5, vcc_lo
// GFX1250: v_rsq_f32_e64 v5, vcc_lo                ; encoding: [0x05,0x00,0xae,0xd5,0x6a,0x00,0x01,0x02]

v_rsq_f32_e64 v5, vcc_hi
// GFX1250: v_rsq_f32_e64 v5, vcc_hi                ; encoding: [0x05,0x00,0xae,0xd5,0x6b,0x00,0x01,0x02]

v_rsq_f32_e64 v5, ttmp15
// GFX1250: v_rsq_f32_e64 v5, ttmp15                ; encoding: [0x05,0x00,0xae,0xd5,0x7b,0x00,0x01,0x02]

v_rsq_f32_e64 v5, m0
// GFX1250: v_rsq_f32_e64 v5, m0                    ; encoding: [0x05,0x00,0xae,0xd5,0x7d,0x00,0x01,0x02]

v_rsq_f32_e64 v5, exec_lo
// GFX1250: v_rsq_f32_e64 v5, exec_lo               ; encoding: [0x05,0x00,0xae,0xd5,0x7e,0x00,0x01,0x02]

v_rsq_f32_e64 v5, exec_hi
// GFX1250: v_rsq_f32_e64 v5, exec_hi               ; encoding: [0x05,0x00,0xae,0xd5,0x7f,0x00,0x01,0x02]

v_rsq_f32_e64 v5, null
// GFX1250: v_rsq_f32_e64 v5, null                  ; encoding: [0x05,0x00,0xae,0xd5,0x7c,0x00,0x01,0x02]

v_rsq_f32_e64 v5, -1
// GFX1250: v_rsq_f32_e64 v5, -1                    ; encoding: [0x05,0x00,0xae,0xd5,0xc1,0x00,0x01,0x02]

v_rsq_f32_e64 v5, 0.5 mul:2
// GFX1250: v_rsq_f32_e64 v5, 0.5 mul:2             ; encoding: [0x05,0x00,0xae,0xd5,0xf0,0x00,0x01,0x0a]

v_rsq_f32_e64 v5, src_scc mul:4
// GFX1250: v_rsq_f32_e64 v5, src_scc mul:4         ; encoding: [0x05,0x00,0xae,0xd5,0xfd,0x00,0x01,0x12]

v_rsq_f32_e64 v255, -|0xaf123456| clamp div:2
// GFX1250: v_rsq_f32_e64 v255, -|0xaf123456| clamp div:2 ; encoding: [0xff,0x81,0xae,0xd5,0xff,0x00,0x01,0x3a,0x56,0x34,0x12,0xaf]

v_rsq_f64_e64 v[6:7], v[2:3]
// GFX1250: v_rsq_f64_e64 v[6:7], v[2:3]            ; encoding: [0x06,0x00,0xb1,0xd5,0x02,0x01,0x01,0x02]

v_rsq_f64_e64 v[6:7], v[254:255]
// GFX1250: v_rsq_f64_e64 v[6:7], v[254:255]        ; encoding: [0x06,0x00,0xb1,0xd5,0xfe,0x01,0x01,0x02]

v_rsq_f64_e64 v[6:7], s[2:3]
// GFX1250: v_rsq_f64_e64 v[6:7], s[2:3]            ; encoding: [0x06,0x00,0xb1,0xd5,0x02,0x00,0x01,0x02]

v_rsq_f64_e64 v[6:7], s[104:105]
// GFX1250: v_rsq_f64_e64 v[6:7], s[104:105]        ; encoding: [0x06,0x00,0xb1,0xd5,0x68,0x00,0x01,0x02]

v_rsq_f64_e64 v[6:7], vcc
// GFX1250: v_rsq_f64_e64 v[6:7], vcc               ; encoding: [0x06,0x00,0xb1,0xd5,0x6a,0x00,0x01,0x02]

v_rsq_f64_e64 v[6:7], ttmp[14:15]
// GFX1250: v_rsq_f64_e64 v[6:7], ttmp[14:15]       ; encoding: [0x06,0x00,0xb1,0xd5,0x7a,0x00,0x01,0x02]

v_rsq_f64_e64 v[6:7], exec
// GFX1250: v_rsq_f64_e64 v[6:7], exec              ; encoding: [0x06,0x00,0xb1,0xd5,0x7e,0x00,0x01,0x02]

v_rsq_f64_e64 v[6:7], null
// GFX1250: v_rsq_f64_e64 v[6:7], null              ; encoding: [0x06,0x00,0xb1,0xd5,0x7c,0x00,0x01,0x02]

v_rsq_f64_e64 v[6:7], -1
// GFX1250: v_rsq_f64_e64 v[6:7], -1                ; encoding: [0x06,0x00,0xb1,0xd5,0xc1,0x00,0x01,0x02]

v_rsq_f64_e64 v[6:7], 0.5 mul:2
// GFX1250: v_rsq_f64_e64 v[6:7], 0.5 mul:2         ; encoding: [0x06,0x00,0xb1,0xd5,0xf0,0x00,0x01,0x0a]

v_rsq_f64_e64 v[6:7], -|src_scc| mul:4
// GFX1250: v_rsq_f64_e64 v[6:7], -|src_scc| mul:4  ; encoding: [0x06,0x01,0xb1,0xd5,0xfd,0x00,0x01,0x32]

v_rsq_f64_e64 v[254:255], 0xaf123456 clamp div:2
// GFX1250: v_rsq_f64_e64 v[254:255], 0xaf123456 clamp div:2 ; encoding: [0xfe,0x80,0xb1,0xd5,0xff,0x00,0x01,0x1a,0x56,0x34,0x12,0xaf]

v_sat_pk_u8_i16_e64 v5, v1
// GFX1250: v_sat_pk_u8_i16_e64 v5, v1              ; encoding: [0x05,0x00,0xe2,0xd5,0x01,0x01,0x01,0x02]

v_sat_pk_u8_i16_e64 v5, v255
// GFX1250: v_sat_pk_u8_i16_e64 v5, v255            ; encoding: [0x05,0x00,0xe2,0xd5,0xff,0x01,0x01,0x02]

v_sat_pk_u8_i16_e64 v5, s1
// GFX1250: v_sat_pk_u8_i16_e64 v5, s1              ; encoding: [0x05,0x00,0xe2,0xd5,0x01,0x00,0x01,0x02]

v_sat_pk_u8_i16_e64 v5, s105
// GFX1250: v_sat_pk_u8_i16_e64 v5, s105            ; encoding: [0x05,0x00,0xe2,0xd5,0x69,0x00,0x01,0x02]

v_sat_pk_u8_i16_e64 v5, vcc_lo
// GFX1250: v_sat_pk_u8_i16_e64 v5, vcc_lo          ; encoding: [0x05,0x00,0xe2,0xd5,0x6a,0x00,0x01,0x02]

v_sat_pk_u8_i16_e64 v5, vcc_hi
// GFX1250: v_sat_pk_u8_i16_e64 v5, vcc_hi          ; encoding: [0x05,0x00,0xe2,0xd5,0x6b,0x00,0x01,0x02]

v_sat_pk_u8_i16_e64 v5, ttmp15
// GFX1250: v_sat_pk_u8_i16_e64 v5, ttmp15          ; encoding: [0x05,0x00,0xe2,0xd5,0x7b,0x00,0x01,0x02]

v_sat_pk_u8_i16_e64 v5, m0
// GFX1250: v_sat_pk_u8_i16_e64 v5, m0              ; encoding: [0x05,0x00,0xe2,0xd5,0x7d,0x00,0x01,0x02]

v_sat_pk_u8_i16_e64 v5, exec_lo
// GFX1250: v_sat_pk_u8_i16_e64 v5, exec_lo         ; encoding: [0x05,0x00,0xe2,0xd5,0x7e,0x00,0x01,0x02]

v_sat_pk_u8_i16_e64 v5, exec_hi
// GFX1250: v_sat_pk_u8_i16_e64 v5, exec_hi         ; encoding: [0x05,0x00,0xe2,0xd5,0x7f,0x00,0x01,0x02]

v_sat_pk_u8_i16_e64 v5, null
// GFX1250: v_sat_pk_u8_i16_e64 v5, null            ; encoding: [0x05,0x00,0xe2,0xd5,0x7c,0x00,0x01,0x02]

v_sat_pk_u8_i16_e64 v5, -1
// GFX1250: v_sat_pk_u8_i16_e64 v5, -1              ; encoding: [0x05,0x00,0xe2,0xd5,0xc1,0x00,0x01,0x02]

v_sat_pk_u8_i16_e64 v5, 0.5
// GFX1250: v_sat_pk_u8_i16_e64 v5, 0.5             ; encoding: [0x05,0x00,0xe2,0xd5,0xf0,0x00,0x01,0x02]

v_sat_pk_u8_i16_e64 v5, src_scc
// GFX1250: v_sat_pk_u8_i16_e64 v5, src_scc         ; encoding: [0x05,0x00,0xe2,0xd5,0xfd,0x00,0x01,0x02]

v_sat_pk_u8_i16_e64 v255, 0xfe0b
// GFX1250: v_sat_pk_u8_i16_e64 v255, 0xfe0b        ; encoding: [0xff,0x00,0xe2,0xd5,0xff,0x00,0x01,0x02,0x0b,0xfe,0x00,0x00]

v_sin_f16_e64 v5, v1
// GFX1250: v_sin_f16_e64 v5, v1                    ; encoding: [0x05,0x00,0xe0,0xd5,0x01,0x01,0x01,0x02]

v_sin_f16_e64 v5, v255
// GFX1250: v_sin_f16_e64 v5, v255                  ; encoding: [0x05,0x00,0xe0,0xd5,0xff,0x01,0x01,0x02]

v_sin_f16_e64 v5, s1
// GFX1250: v_sin_f16_e64 v5, s1                    ; encoding: [0x05,0x00,0xe0,0xd5,0x01,0x00,0x01,0x02]

v_sin_f16_e64 v5, s105
// GFX1250: v_sin_f16_e64 v5, s105                  ; encoding: [0x05,0x00,0xe0,0xd5,0x69,0x00,0x01,0x02]

v_sin_f16_e64 v5, vcc_lo
// GFX1250: v_sin_f16_e64 v5, vcc_lo                ; encoding: [0x05,0x00,0xe0,0xd5,0x6a,0x00,0x01,0x02]

v_sin_f16_e64 v5, vcc_hi
// GFX1250: v_sin_f16_e64 v5, vcc_hi                ; encoding: [0x05,0x00,0xe0,0xd5,0x6b,0x00,0x01,0x02]

v_sin_f16_e64 v5, ttmp15
// GFX1250: v_sin_f16_e64 v5, ttmp15                ; encoding: [0x05,0x00,0xe0,0xd5,0x7b,0x00,0x01,0x02]

v_sin_f16_e64 v5, m0
// GFX1250: v_sin_f16_e64 v5, m0                    ; encoding: [0x05,0x00,0xe0,0xd5,0x7d,0x00,0x01,0x02]

v_sin_f16_e64 v5, exec_lo
// GFX1250: v_sin_f16_e64 v5, exec_lo               ; encoding: [0x05,0x00,0xe0,0xd5,0x7e,0x00,0x01,0x02]

v_sin_f16_e64 v5, exec_hi
// GFX1250: v_sin_f16_e64 v5, exec_hi               ; encoding: [0x05,0x00,0xe0,0xd5,0x7f,0x00,0x01,0x02]

v_sin_f16_e64 v5, null
// GFX1250: v_sin_f16_e64 v5, null                  ; encoding: [0x05,0x00,0xe0,0xd5,0x7c,0x00,0x01,0x02]

v_sin_f16_e64 v5, -1
// GFX1250: v_sin_f16_e64 v5, -1                    ; encoding: [0x05,0x00,0xe0,0xd5,0xc1,0x00,0x01,0x02]

v_sin_f16_e64 v5, 0.5 mul:2
// GFX1250: v_sin_f16_e64 v5, 0.5 mul:2             ; encoding: [0x05,0x00,0xe0,0xd5,0xf0,0x00,0x01,0x0a]

v_sin_f16_e64 v5, src_scc mul:4
// GFX1250: v_sin_f16_e64 v5, src_scc mul:4         ; encoding: [0x05,0x00,0xe0,0xd5,0xfd,0x00,0x01,0x12]

v_sin_f16_e64 v255, -|0xfe0b| clamp div:2
// GFX1250: v_sin_f16_e64 v255, -|0xfe0b| clamp div:2 ; encoding: [0xff,0x81,0xe0,0xd5,0xff,0x00,0x01,0x3a,0x0b,0xfe,0x00,0x00]

v_sin_f32_e64 v5, v1
// GFX1250: v_sin_f32_e64 v5, v1                    ; encoding: [0x05,0x00,0xb5,0xd5,0x01,0x01,0x01,0x02]

v_sin_f32_e64 v5, v255
// GFX1250: v_sin_f32_e64 v5, v255                  ; encoding: [0x05,0x00,0xb5,0xd5,0xff,0x01,0x01,0x02]

v_sin_f32_e64 v5, s1
// GFX1250: v_sin_f32_e64 v5, s1                    ; encoding: [0x05,0x00,0xb5,0xd5,0x01,0x00,0x01,0x02]

v_sin_f32_e64 v5, s105
// GFX1250: v_sin_f32_e64 v5, s105                  ; encoding: [0x05,0x00,0xb5,0xd5,0x69,0x00,0x01,0x02]

v_sin_f32_e64 v5, vcc_lo
// GFX1250: v_sin_f32_e64 v5, vcc_lo                ; encoding: [0x05,0x00,0xb5,0xd5,0x6a,0x00,0x01,0x02]

v_sin_f32_e64 v5, vcc_hi
// GFX1250: v_sin_f32_e64 v5, vcc_hi                ; encoding: [0x05,0x00,0xb5,0xd5,0x6b,0x00,0x01,0x02]

v_sin_f32_e64 v5, ttmp15
// GFX1250: v_sin_f32_e64 v5, ttmp15                ; encoding: [0x05,0x00,0xb5,0xd5,0x7b,0x00,0x01,0x02]

v_sin_f32_e64 v5, m0
// GFX1250: v_sin_f32_e64 v5, m0                    ; encoding: [0x05,0x00,0xb5,0xd5,0x7d,0x00,0x01,0x02]

v_sin_f32_e64 v5, exec_lo
// GFX1250: v_sin_f32_e64 v5, exec_lo               ; encoding: [0x05,0x00,0xb5,0xd5,0x7e,0x00,0x01,0x02]

v_sin_f32_e64 v5, exec_hi
// GFX1250: v_sin_f32_e64 v5, exec_hi               ; encoding: [0x05,0x00,0xb5,0xd5,0x7f,0x00,0x01,0x02]

v_sin_f32_e64 v5, null
// GFX1250: v_sin_f32_e64 v5, null                  ; encoding: [0x05,0x00,0xb5,0xd5,0x7c,0x00,0x01,0x02]

v_sin_f32_e64 v5, -1
// GFX1250: v_sin_f32_e64 v5, -1                    ; encoding: [0x05,0x00,0xb5,0xd5,0xc1,0x00,0x01,0x02]

v_sin_f32_e64 v5, 0.5 mul:2
// GFX1250: v_sin_f32_e64 v5, 0.5 mul:2             ; encoding: [0x05,0x00,0xb5,0xd5,0xf0,0x00,0x01,0x0a]

v_sin_f32_e64 v5, src_scc mul:4
// GFX1250: v_sin_f32_e64 v5, src_scc mul:4         ; encoding: [0x05,0x00,0xb5,0xd5,0xfd,0x00,0x01,0x12]

v_sin_f32_e64 v255, -|0xaf123456| clamp div:2
// GFX1250: v_sin_f32_e64 v255, -|0xaf123456| clamp div:2 ; encoding: [0xff,0x81,0xb5,0xd5,0xff,0x00,0x01,0x3a,0x56,0x34,0x12,0xaf]

v_sqrt_f16_e64 v5, v1
// GFX1250: v_sqrt_f16_e64 v5, v1                   ; encoding: [0x05,0x00,0xd5,0xd5,0x01,0x01,0x01,0x02]

v_sqrt_f16_e64 v5, v255
// GFX1250: v_sqrt_f16_e64 v5, v255                 ; encoding: [0x05,0x00,0xd5,0xd5,0xff,0x01,0x01,0x02]

v_sqrt_f16_e64 v5, s1
// GFX1250: v_sqrt_f16_e64 v5, s1                   ; encoding: [0x05,0x00,0xd5,0xd5,0x01,0x00,0x01,0x02]

v_sqrt_f16_e64 v5, s105
// GFX1250: v_sqrt_f16_e64 v5, s105                 ; encoding: [0x05,0x00,0xd5,0xd5,0x69,0x00,0x01,0x02]

v_sqrt_f16_e64 v5, vcc_lo
// GFX1250: v_sqrt_f16_e64 v5, vcc_lo               ; encoding: [0x05,0x00,0xd5,0xd5,0x6a,0x00,0x01,0x02]

v_sqrt_f16_e64 v5, vcc_hi
// GFX1250: v_sqrt_f16_e64 v5, vcc_hi               ; encoding: [0x05,0x00,0xd5,0xd5,0x6b,0x00,0x01,0x02]

v_sqrt_f16_e64 v5, ttmp15
// GFX1250: v_sqrt_f16_e64 v5, ttmp15               ; encoding: [0x05,0x00,0xd5,0xd5,0x7b,0x00,0x01,0x02]

v_sqrt_f16_e64 v5, m0
// GFX1250: v_sqrt_f16_e64 v5, m0                   ; encoding: [0x05,0x00,0xd5,0xd5,0x7d,0x00,0x01,0x02]

v_sqrt_f16_e64 v5, exec_lo
// GFX1250: v_sqrt_f16_e64 v5, exec_lo              ; encoding: [0x05,0x00,0xd5,0xd5,0x7e,0x00,0x01,0x02]

v_sqrt_f16_e64 v5, exec_hi
// GFX1250: v_sqrt_f16_e64 v5, exec_hi              ; encoding: [0x05,0x00,0xd5,0xd5,0x7f,0x00,0x01,0x02]

v_sqrt_f16_e64 v5, null
// GFX1250: v_sqrt_f16_e64 v5, null                 ; encoding: [0x05,0x00,0xd5,0xd5,0x7c,0x00,0x01,0x02]

v_sqrt_f16_e64 v5, -1
// GFX1250: v_sqrt_f16_e64 v5, -1                   ; encoding: [0x05,0x00,0xd5,0xd5,0xc1,0x00,0x01,0x02]

v_sqrt_f16_e64 v5, 0.5 mul:2
// GFX1250: v_sqrt_f16_e64 v5, 0.5 mul:2            ; encoding: [0x05,0x00,0xd5,0xd5,0xf0,0x00,0x01,0x0a]

v_sqrt_f16_e64 v5, src_scc mul:4
// GFX1250: v_sqrt_f16_e64 v5, src_scc mul:4        ; encoding: [0x05,0x00,0xd5,0xd5,0xfd,0x00,0x01,0x12]

v_sqrt_f16_e64 v255, -|0xfe0b| clamp div:2
// GFX1250: v_sqrt_f16_e64 v255, -|0xfe0b| clamp div:2 ; encoding: [0xff,0x81,0xd5,0xd5,0xff,0x00,0x01,0x3a,0x0b,0xfe,0x00,0x00]

v_sqrt_f32_e64 v5, v1
// GFX1250: v_sqrt_f32_e64 v5, v1                   ; encoding: [0x05,0x00,0xb3,0xd5,0x01,0x01,0x01,0x02]

v_sqrt_f32_e64 v5, v255
// GFX1250: v_sqrt_f32_e64 v5, v255                 ; encoding: [0x05,0x00,0xb3,0xd5,0xff,0x01,0x01,0x02]

v_sqrt_f32_e64 v5, s1
// GFX1250: v_sqrt_f32_e64 v5, s1                   ; encoding: [0x05,0x00,0xb3,0xd5,0x01,0x00,0x01,0x02]

v_sqrt_f32_e64 v5, s105
// GFX1250: v_sqrt_f32_e64 v5, s105                 ; encoding: [0x05,0x00,0xb3,0xd5,0x69,0x00,0x01,0x02]

v_sqrt_f32_e64 v5, vcc_lo
// GFX1250: v_sqrt_f32_e64 v5, vcc_lo               ; encoding: [0x05,0x00,0xb3,0xd5,0x6a,0x00,0x01,0x02]

v_sqrt_f32_e64 v5, vcc_hi
// GFX1250: v_sqrt_f32_e64 v5, vcc_hi               ; encoding: [0x05,0x00,0xb3,0xd5,0x6b,0x00,0x01,0x02]

v_sqrt_f32_e64 v5, ttmp15
// GFX1250: v_sqrt_f32_e64 v5, ttmp15               ; encoding: [0x05,0x00,0xb3,0xd5,0x7b,0x00,0x01,0x02]

v_sqrt_f32_e64 v5, m0
// GFX1250: v_sqrt_f32_e64 v5, m0                   ; encoding: [0x05,0x00,0xb3,0xd5,0x7d,0x00,0x01,0x02]

v_sqrt_f32_e64 v5, exec_lo
// GFX1250: v_sqrt_f32_e64 v5, exec_lo              ; encoding: [0x05,0x00,0xb3,0xd5,0x7e,0x00,0x01,0x02]

v_sqrt_f32_e64 v5, exec_hi
// GFX1250: v_sqrt_f32_e64 v5, exec_hi              ; encoding: [0x05,0x00,0xb3,0xd5,0x7f,0x00,0x01,0x02]

v_sqrt_f32_e64 v5, null
// GFX1250: v_sqrt_f32_e64 v5, null                 ; encoding: [0x05,0x00,0xb3,0xd5,0x7c,0x00,0x01,0x02]

v_sqrt_f32_e64 v5, -1
// GFX1250: v_sqrt_f32_e64 v5, -1                   ; encoding: [0x05,0x00,0xb3,0xd5,0xc1,0x00,0x01,0x02]

v_sqrt_f32_e64 v5, 0.5 mul:2
// GFX1250: v_sqrt_f32_e64 v5, 0.5 mul:2            ; encoding: [0x05,0x00,0xb3,0xd5,0xf0,0x00,0x01,0x0a]

v_sqrt_f32_e64 v5, src_scc mul:4
// GFX1250: v_sqrt_f32_e64 v5, src_scc mul:4        ; encoding: [0x05,0x00,0xb3,0xd5,0xfd,0x00,0x01,0x12]

v_sqrt_f32_e64 v255, -|0xaf123456| clamp div:2
// GFX1250: v_sqrt_f32_e64 v255, -|0xaf123456| clamp div:2 ; encoding: [0xff,0x81,0xb3,0xd5,0xff,0x00,0x01,0x3a,0x56,0x34,0x12,0xaf]

v_sqrt_f64_e64 v[6:7], v[2:3]
// GFX1250: v_sqrt_f64_e64 v[6:7], v[2:3]           ; encoding: [0x06,0x00,0xb4,0xd5,0x02,0x01,0x01,0x02]

v_sqrt_f64_e64 v[6:7], v[254:255]
// GFX1250: v_sqrt_f64_e64 v[6:7], v[254:255]       ; encoding: [0x06,0x00,0xb4,0xd5,0xfe,0x01,0x01,0x02]

v_sqrt_f64_e64 v[6:7], s[2:3]
// GFX1250: v_sqrt_f64_e64 v[6:7], s[2:3]           ; encoding: [0x06,0x00,0xb4,0xd5,0x02,0x00,0x01,0x02]

v_sqrt_f64_e64 v[6:7], s[104:105]
// GFX1250: v_sqrt_f64_e64 v[6:7], s[104:105]       ; encoding: [0x06,0x00,0xb4,0xd5,0x68,0x00,0x01,0x02]

v_sqrt_f64_e64 v[6:7], vcc
// GFX1250: v_sqrt_f64_e64 v[6:7], vcc              ; encoding: [0x06,0x00,0xb4,0xd5,0x6a,0x00,0x01,0x02]

v_sqrt_f64_e64 v[6:7], ttmp[14:15]
// GFX1250: v_sqrt_f64_e64 v[6:7], ttmp[14:15]      ; encoding: [0x06,0x00,0xb4,0xd5,0x7a,0x00,0x01,0x02]

v_sqrt_f64_e64 v[6:7], exec
// GFX1250: v_sqrt_f64_e64 v[6:7], exec             ; encoding: [0x06,0x00,0xb4,0xd5,0x7e,0x00,0x01,0x02]

v_sqrt_f64_e64 v[6:7], null
// GFX1250: v_sqrt_f64_e64 v[6:7], null             ; encoding: [0x06,0x00,0xb4,0xd5,0x7c,0x00,0x01,0x02]

v_sqrt_f64_e64 v[6:7], -1
// GFX1250: v_sqrt_f64_e64 v[6:7], -1               ; encoding: [0x06,0x00,0xb4,0xd5,0xc1,0x00,0x01,0x02]

v_sqrt_f64_e64 v[6:7], 0.5 mul:2
// GFX1250: v_sqrt_f64_e64 v[6:7], 0.5 mul:2        ; encoding: [0x06,0x00,0xb4,0xd5,0xf0,0x00,0x01,0x0a]

v_sqrt_f64_e64 v[6:7], -|src_scc| mul:4
// GFX1250: v_sqrt_f64_e64 v[6:7], -|src_scc| mul:4 ; encoding: [0x06,0x01,0xb4,0xd5,0xfd,0x00,0x01,0x32]

v_sqrt_f64_e64 v[254:255], 0xaf123456 clamp div:2
// GFX1250: v_sqrt_f64_e64 v[254:255], 0xaf123456 clamp div:2 ; encoding: [0xfe,0x80,0xb4,0xd5,0xff,0x00,0x01,0x1a,0x56,0x34,0x12,0xaf]

v_trunc_f16_e64 v5, v1
// GFX1250: v_trunc_f16_e64 v5, v1                  ; encoding: [0x05,0x00,0xdd,0xd5,0x01,0x01,0x01,0x02]

v_trunc_f16_e64 v5, v255
// GFX1250: v_trunc_f16_e64 v5, v255                ; encoding: [0x05,0x00,0xdd,0xd5,0xff,0x01,0x01,0x02]

v_trunc_f16_e64 v5, s1
// GFX1250: v_trunc_f16_e64 v5, s1                  ; encoding: [0x05,0x00,0xdd,0xd5,0x01,0x00,0x01,0x02]

v_trunc_f16_e64 v5, s105
// GFX1250: v_trunc_f16_e64 v5, s105                ; encoding: [0x05,0x00,0xdd,0xd5,0x69,0x00,0x01,0x02]

v_trunc_f16_e64 v5, vcc_lo
// GFX1250: v_trunc_f16_e64 v5, vcc_lo              ; encoding: [0x05,0x00,0xdd,0xd5,0x6a,0x00,0x01,0x02]

v_trunc_f16_e64 v5, vcc_hi
// GFX1250: v_trunc_f16_e64 v5, vcc_hi              ; encoding: [0x05,0x00,0xdd,0xd5,0x6b,0x00,0x01,0x02]

v_trunc_f16_e64 v5, ttmp15
// GFX1250: v_trunc_f16_e64 v5, ttmp15              ; encoding: [0x05,0x00,0xdd,0xd5,0x7b,0x00,0x01,0x02]

v_trunc_f16_e64 v5, m0
// GFX1250: v_trunc_f16_e64 v5, m0                  ; encoding: [0x05,0x00,0xdd,0xd5,0x7d,0x00,0x01,0x02]

v_trunc_f16_e64 v5, exec_lo
// GFX1250: v_trunc_f16_e64 v5, exec_lo             ; encoding: [0x05,0x00,0xdd,0xd5,0x7e,0x00,0x01,0x02]

v_trunc_f16_e64 v5, exec_hi
// GFX1250: v_trunc_f16_e64 v5, exec_hi             ; encoding: [0x05,0x00,0xdd,0xd5,0x7f,0x00,0x01,0x02]

v_trunc_f16_e64 v5, null
// GFX1250: v_trunc_f16_e64 v5, null                ; encoding: [0x05,0x00,0xdd,0xd5,0x7c,0x00,0x01,0x02]

v_trunc_f16_e64 v5, -1
// GFX1250: v_trunc_f16_e64 v5, -1                  ; encoding: [0x05,0x00,0xdd,0xd5,0xc1,0x00,0x01,0x02]

v_trunc_f16_e64 v5, 0.5 mul:2
// GFX1250: v_trunc_f16_e64 v5, 0.5 mul:2           ; encoding: [0x05,0x00,0xdd,0xd5,0xf0,0x00,0x01,0x0a]

v_trunc_f16_e64 v5, src_scc mul:4
// GFX1250: v_trunc_f16_e64 v5, src_scc mul:4       ; encoding: [0x05,0x00,0xdd,0xd5,0xfd,0x00,0x01,0x12]

v_trunc_f16_e64 v255, -|0xfe0b| clamp div:2
// GFX1250: v_trunc_f16_e64 v255, -|0xfe0b| clamp div:2 ; encoding: [0xff,0x81,0xdd,0xd5,0xff,0x00,0x01,0x3a,0x0b,0xfe,0x00,0x00]

v_trunc_f32_e64 v5, v1
// GFX1250: v_trunc_f32_e64 v5, v1                  ; encoding: [0x05,0x00,0xa1,0xd5,0x01,0x01,0x01,0x02]

v_trunc_f32_e64 v5, v255
// GFX1250: v_trunc_f32_e64 v5, v255                ; encoding: [0x05,0x00,0xa1,0xd5,0xff,0x01,0x01,0x02]

v_trunc_f32_e64 v5, s1
// GFX1250: v_trunc_f32_e64 v5, s1                  ; encoding: [0x05,0x00,0xa1,0xd5,0x01,0x00,0x01,0x02]

v_trunc_f32_e64 v5, s105
// GFX1250: v_trunc_f32_e64 v5, s105                ; encoding: [0x05,0x00,0xa1,0xd5,0x69,0x00,0x01,0x02]

v_trunc_f32_e64 v5, vcc_lo
// GFX1250: v_trunc_f32_e64 v5, vcc_lo              ; encoding: [0x05,0x00,0xa1,0xd5,0x6a,0x00,0x01,0x02]

v_trunc_f32_e64 v5, vcc_hi
// GFX1250: v_trunc_f32_e64 v5, vcc_hi              ; encoding: [0x05,0x00,0xa1,0xd5,0x6b,0x00,0x01,0x02]

v_trunc_f32_e64 v5, ttmp15
// GFX1250: v_trunc_f32_e64 v5, ttmp15              ; encoding: [0x05,0x00,0xa1,0xd5,0x7b,0x00,0x01,0x02]

v_trunc_f32_e64 v5, m0
// GFX1250: v_trunc_f32_e64 v5, m0                  ; encoding: [0x05,0x00,0xa1,0xd5,0x7d,0x00,0x01,0x02]

v_trunc_f32_e64 v5, exec_lo
// GFX1250: v_trunc_f32_e64 v5, exec_lo             ; encoding: [0x05,0x00,0xa1,0xd5,0x7e,0x00,0x01,0x02]

v_trunc_f32_e64 v5, exec_hi
// GFX1250: v_trunc_f32_e64 v5, exec_hi             ; encoding: [0x05,0x00,0xa1,0xd5,0x7f,0x00,0x01,0x02]

v_trunc_f32_e64 v5, null
// GFX1250: v_trunc_f32_e64 v5, null                ; encoding: [0x05,0x00,0xa1,0xd5,0x7c,0x00,0x01,0x02]

v_trunc_f32_e64 v5, -1
// GFX1250: v_trunc_f32_e64 v5, -1                  ; encoding: [0x05,0x00,0xa1,0xd5,0xc1,0x00,0x01,0x02]

v_trunc_f32_e64 v5, 0.5 mul:2
// GFX1250: v_trunc_f32_e64 v5, 0.5 mul:2           ; encoding: [0x05,0x00,0xa1,0xd5,0xf0,0x00,0x01,0x0a]

v_trunc_f32_e64 v5, src_scc mul:4
// GFX1250: v_trunc_f32_e64 v5, src_scc mul:4       ; encoding: [0x05,0x00,0xa1,0xd5,0xfd,0x00,0x01,0x12]

v_trunc_f32_e64 v255, -|0xaf123456| clamp div:2
// GFX1250: v_trunc_f32_e64 v255, -|0xaf123456| clamp div:2 ; encoding: [0xff,0x81,0xa1,0xd5,0xff,0x00,0x01,0x3a,0x56,0x34,0x12,0xaf]

v_trunc_f64_e64 v[6:7], v[2:3]
// GFX1250: v_trunc_f64_e64 v[6:7], v[2:3]          ; encoding: [0x06,0x00,0x97,0xd5,0x02,0x01,0x01,0x02]

v_trunc_f64_e64 v[6:7], v[254:255]
// GFX1250: v_trunc_f64_e64 v[6:7], v[254:255]      ; encoding: [0x06,0x00,0x97,0xd5,0xfe,0x01,0x01,0x02]

v_trunc_f64_e64 v[6:7], s[2:3]
// GFX1250: v_trunc_f64_e64 v[6:7], s[2:3]          ; encoding: [0x06,0x00,0x97,0xd5,0x02,0x00,0x01,0x02]

v_trunc_f64_e64 v[6:7], s[104:105]
// GFX1250: v_trunc_f64_e64 v[6:7], s[104:105]      ; encoding: [0x06,0x00,0x97,0xd5,0x68,0x00,0x01,0x02]

v_trunc_f64_e64 v[6:7], vcc
// GFX1250: v_trunc_f64_e64 v[6:7], vcc             ; encoding: [0x06,0x00,0x97,0xd5,0x6a,0x00,0x01,0x02]

v_trunc_f64_e64 v[6:7], ttmp[14:15]
// GFX1250: v_trunc_f64_e64 v[6:7], ttmp[14:15]     ; encoding: [0x06,0x00,0x97,0xd5,0x7a,0x00,0x01,0x02]

v_trunc_f64_e64 v[6:7], exec
// GFX1250: v_trunc_f64_e64 v[6:7], exec            ; encoding: [0x06,0x00,0x97,0xd5,0x7e,0x00,0x01,0x02]

v_trunc_f64_e64 v[6:7], null
// GFX1250: v_trunc_f64_e64 v[6:7], null            ; encoding: [0x06,0x00,0x97,0xd5,0x7c,0x00,0x01,0x02]

v_trunc_f64_e64 v[6:7], -1
// GFX1250: v_trunc_f64_e64 v[6:7], -1              ; encoding: [0x06,0x00,0x97,0xd5,0xc1,0x00,0x01,0x02]

v_trunc_f64_e64 v[6:7], 0.5 mul:2
// GFX1250: v_trunc_f64_e64 v[6:7], 0.5 mul:2       ; encoding: [0x06,0x00,0x97,0xd5,0xf0,0x00,0x01,0x0a]

v_trunc_f64_e64 v[6:7], -|src_scc| mul:4
// GFX1250: v_trunc_f64_e64 v[6:7], -|src_scc| mul:4 ; encoding: [0x06,0x01,0x97,0xd5,0xfd,0x00,0x01,0x32]

v_trunc_f64_e64 v[254:255], 0xaf123456 clamp div:2
// GFX1250: v_trunc_f64_e64 v[254:255], 0xaf123456 clamp div:2 ; encoding: [0xfe,0x80,0x97,0xd5,0xff,0x00,0x01,0x1a,0x56,0x34,0x12,0xaf]

v_tanh_f32_e64 v5, v1
// GFX1250: v_tanh_f32_e64 v5, v1                   ; encoding: [0x05,0x00,0x9e,0xd5,0x01,0x01,0x01,0x02]

v_tanh_f32_e64 v5, v255
// GFX1250: v_tanh_f32_e64 v5, v255                 ; encoding: [0x05,0x00,0x9e,0xd5,0xff,0x01,0x01,0x02]

v_tanh_f32_e64 v5, s1
// GFX1250: v_tanh_f32_e64 v5, s1                   ; encoding: [0x05,0x00,0x9e,0xd5,0x01,0x00,0x01,0x02]

v_tanh_f32_e64 v5, s105
// GFX1250: v_tanh_f32_e64 v5, s105                 ; encoding: [0x05,0x00,0x9e,0xd5,0x69,0x00,0x01,0x02]

v_tanh_f32_e64 v5, vcc_lo
// GFX1250: v_tanh_f32_e64 v5, vcc_lo               ; encoding: [0x05,0x00,0x9e,0xd5,0x6a,0x00,0x01,0x02]

v_tanh_f32_e64 v5, vcc_hi
// GFX1250: v_tanh_f32_e64 v5, vcc_hi               ; encoding: [0x05,0x00,0x9e,0xd5,0x6b,0x00,0x01,0x02]

v_tanh_f32_e64 v5, ttmp15
// GFX1250: v_tanh_f32_e64 v5, ttmp15               ; encoding: [0x05,0x00,0x9e,0xd5,0x7b,0x00,0x01,0x02]

v_tanh_f32_e64 v5, m0
// GFX1250: v_tanh_f32_e64 v5, m0                   ; encoding: [0x05,0x00,0x9e,0xd5,0x7d,0x00,0x01,0x02]

v_tanh_f32_e64 v5, exec_lo
// GFX1250: v_tanh_f32_e64 v5, exec_lo              ; encoding: [0x05,0x00,0x9e,0xd5,0x7e,0x00,0x01,0x02]

v_tanh_f32_e64 v5, exec_hi
// GFX1250: v_tanh_f32_e64 v5, exec_hi              ; encoding: [0x05,0x00,0x9e,0xd5,0x7f,0x00,0x01,0x02]

v_tanh_f32_e64 v5, null
// GFX1250: v_tanh_f32_e64 v5, null                 ; encoding: [0x05,0x00,0x9e,0xd5,0x7c,0x00,0x01,0x02]

v_tanh_f32_e64 v5, -1
// GFX1250: v_tanh_f32_e64 v5, -1                   ; encoding: [0x05,0x00,0x9e,0xd5,0xc1,0x00,0x01,0x02]

v_tanh_f32_e64 v5, 0.5 mul:2
// GFX1250: v_tanh_f32_e64 v5, 0.5 mul:2            ; encoding: [0x05,0x00,0x9e,0xd5,0xf0,0x00,0x01,0x0a]

v_tanh_f32_e64 v5, src_scc mul:4
// GFX1250: v_tanh_f32_e64 v5, src_scc mul:4        ; encoding: [0x05,0x00,0x9e,0xd5,0xfd,0x00,0x01,0x12]

v_tanh_f32_e64 v255, -|0xaf123456| clamp div:2
// GFX1250: v_tanh_f32_e64 v255, -|0xaf123456| clamp div:2 ; encoding: [0xff,0x81,0x9e,0xd5,0xff,0x00,0x01,0x3a,0x56,0x34,0x12,0xaf]

v_tanh_f16_e64 v5, v1
// GFX1250: v_tanh_f16_e64 v5, v1                   ; encoding: [0x05,0x00,0x9f,0xd5,0x01,0x01,0x01,0x02]

v_tanh_f16_e64 v5, v255
// GFX1250: v_tanh_f16_e64 v5, v255                 ; encoding: [0x05,0x00,0x9f,0xd5,0xff,0x01,0x01,0x02]

v_tanh_f16_e64 v5, s1
// GFX1250: v_tanh_f16_e64 v5, s1                   ; encoding: [0x05,0x00,0x9f,0xd5,0x01,0x00,0x01,0x02]

v_tanh_f16_e64 v5, s105
// GFX1250: v_tanh_f16_e64 v5, s105                 ; encoding: [0x05,0x00,0x9f,0xd5,0x69,0x00,0x01,0x02]

v_tanh_f16_e64 v5, vcc_lo
// GFX1250: v_tanh_f16_e64 v5, vcc_lo               ; encoding: [0x05,0x00,0x9f,0xd5,0x6a,0x00,0x01,0x02]

v_tanh_f16_e64 v5, vcc_hi
// GFX1250: v_tanh_f16_e64 v5, vcc_hi               ; encoding: [0x05,0x00,0x9f,0xd5,0x6b,0x00,0x01,0x02]

v_tanh_f16_e64 v5, ttmp15
// GFX1250: v_tanh_f16_e64 v5, ttmp15               ; encoding: [0x05,0x00,0x9f,0xd5,0x7b,0x00,0x01,0x02]

v_tanh_f16_e64 v5, m0
// GFX1250: v_tanh_f16_e64 v5, m0                   ; encoding: [0x05,0x00,0x9f,0xd5,0x7d,0x00,0x01,0x02]

v_tanh_f16_e64 v5, exec_lo
// GFX1250: v_tanh_f16_e64 v5, exec_lo              ; encoding: [0x05,0x00,0x9f,0xd5,0x7e,0x00,0x01,0x02]

v_tanh_f16_e64 v5, exec_hi
// GFX1250: v_tanh_f16_e64 v5, exec_hi              ; encoding: [0x05,0x00,0x9f,0xd5,0x7f,0x00,0x01,0x02]

v_tanh_f16_e64 v5, null
// GFX1250: v_tanh_f16_e64 v5, null                 ; encoding: [0x05,0x00,0x9f,0xd5,0x7c,0x00,0x01,0x02]

v_tanh_f16_e64 v5, -1
// GFX1250: v_tanh_f16_e64 v5, -1                   ; encoding: [0x05,0x00,0x9f,0xd5,0xc1,0x00,0x01,0x02]

v_tanh_f16_e64 v5, 0.5 mul:2
// GFX1250: v_tanh_f16_e64 v5, 0.5 mul:2            ; encoding: [0x05,0x00,0x9f,0xd5,0xf0,0x00,0x01,0x0a]

v_tanh_f16_e64 v5, src_scc mul:4
// GFX1250: v_tanh_f16_e64 v5, src_scc mul:4        ; encoding: [0x05,0x00,0x9f,0xd5,0xfd,0x00,0x01,0x12]

v_tanh_f16_e64 v255, -|0x8000| clamp div:2
// GFX1250: v_tanh_f16_e64 v255, -|0x8000| clamp div:2 ; encoding: [0xff,0x81,0x9f,0xd5,0xff,0x00,0x01,0x3a,0x00,0x80,0x00,0x00]

v_tanh_bf16_e64 v5, v1
// GFX1250: v_tanh_bf16_e64 v5, v1                  ; encoding: [0x05,0x00,0xca,0xd5,0x01,0x01,0x01,0x02]

v_tanh_bf16_e64 v5, v255
// GFX1250: v_tanh_bf16_e64 v5, v255                ; encoding: [0x05,0x00,0xca,0xd5,0xff,0x01,0x01,0x02]

v_tanh_bf16_e64 v5, s1
// GFX1250: v_tanh_bf16_e64 v5, s1                  ; encoding: [0x05,0x00,0xca,0xd5,0x01,0x00,0x01,0x02]

v_tanh_bf16_e64 v5, s105
// GFX1250: v_tanh_bf16_e64 v5, s105                ; encoding: [0x05,0x00,0xca,0xd5,0x69,0x00,0x01,0x02]

v_tanh_bf16_e64 v5, vcc_lo
// GFX1250: v_tanh_bf16_e64 v5, vcc_lo              ; encoding: [0x05,0x00,0xca,0xd5,0x6a,0x00,0x01,0x02]

v_tanh_bf16_e64 v5, vcc_hi
// GFX1250: v_tanh_bf16_e64 v5, vcc_hi              ; encoding: [0x05,0x00,0xca,0xd5,0x6b,0x00,0x01,0x02]

v_tanh_bf16_e64 v5, ttmp15
// GFX1250: v_tanh_bf16_e64 v5, ttmp15              ; encoding: [0x05,0x00,0xca,0xd5,0x7b,0x00,0x01,0x02]

v_tanh_bf16_e64 v5, m0
// GFX1250: v_tanh_bf16_e64 v5, m0                  ; encoding: [0x05,0x00,0xca,0xd5,0x7d,0x00,0x01,0x02]

v_tanh_bf16_e64 v5, exec_lo
// GFX1250: v_tanh_bf16_e64 v5, exec_lo             ; encoding: [0x05,0x00,0xca,0xd5,0x7e,0x00,0x01,0x02]

v_tanh_bf16_e64 v5, exec_hi
// GFX1250: v_tanh_bf16_e64 v5, exec_hi             ; encoding: [0x05,0x00,0xca,0xd5,0x7f,0x00,0x01,0x02]

v_tanh_bf16_e64 v5, null
// GFX1250: v_tanh_bf16_e64 v5, null                ; encoding: [0x05,0x00,0xca,0xd5,0x7c,0x00,0x01,0x02]

v_tanh_bf16_e64 v5, -1
// GFX1250: v_tanh_bf16_e64 v5, -1                  ; encoding: [0x05,0x00,0xca,0xd5,0xc1,0x00,0x01,0x02]

v_prng_b32_e64 v5, v1
// GFX1250: v_prng_b32_e64 v5, v1                   ; encoding: [0x05,0x00,0xcb,0xd5,0x01,0x01,0x01,0x02]

v_prng_b32_e64 v5, v255
// GFX1250: v_prng_b32_e64 v5, v255                 ; encoding: [0x05,0x00,0xcb,0xd5,0xff,0x01,0x01,0x02]

v_prng_b32_e64 v5, s1
// GFX1250: v_prng_b32_e64 v5, s1                   ; encoding: [0x05,0x00,0xcb,0xd5,0x01,0x00,0x01,0x02]

v_prng_b32_e64 v5, s105
// GFX1250: v_prng_b32_e64 v5, s105                 ; encoding: [0x05,0x00,0xcb,0xd5,0x69,0x00,0x01,0x02]

v_prng_b32_e64 v5, vcc_lo
// GFX1250: v_prng_b32_e64 v5, vcc_lo               ; encoding: [0x05,0x00,0xcb,0xd5,0x6a,0x00,0x01,0x02]

v_prng_b32_e64 v5, vcc_hi
// GFX1250: v_prng_b32_e64 v5, vcc_hi               ; encoding: [0x05,0x00,0xcb,0xd5,0x6b,0x00,0x01,0x02]

v_prng_b32_e64 v5, ttmp15
// GFX1250: v_prng_b32_e64 v5, ttmp15               ; encoding: [0x05,0x00,0xcb,0xd5,0x7b,0x00,0x01,0x02]

v_prng_b32_e64 v5, m0
// GFX1250: v_prng_b32_e64 v5, m0                   ; encoding: [0x05,0x00,0xcb,0xd5,0x7d,0x00,0x01,0x02]

v_prng_b32_e64 v5, exec_lo
// GFX1250: v_prng_b32_e64 v5, exec_lo              ; encoding: [0x05,0x00,0xcb,0xd5,0x7e,0x00,0x01,0x02]

v_prng_b32_e64 v5, exec_hi
// GFX1250: v_prng_b32_e64 v5, exec_hi              ; encoding: [0x05,0x00,0xcb,0xd5,0x7f,0x00,0x01,0x02]

v_prng_b32_e64 v5, null
// GFX1250: v_prng_b32_e64 v5, null                 ; encoding: [0x05,0x00,0xcb,0xd5,0x7c,0x00,0x01,0x02]

v_prng_b32_e64 v5, -1
// GFX1250: v_prng_b32_e64 v5, -1                   ; encoding: [0x05,0x00,0xcb,0xd5,0xc1,0x00,0x01,0x02]

v_rcp_bf16_e64 v5, v1
// GFX1250: v_rcp_bf16_e64 v5, v1                   ; encoding: [0x05,0x00,0xf9,0xd5,0x01,0x01,0x01,0x02]

v_rcp_bf16_e64 v5, v255
// GFX1250: v_rcp_bf16_e64 v5, v255                 ; encoding: [0x05,0x00,0xf9,0xd5,0xff,0x01,0x01,0x02]

v_rcp_bf16_e64 v5, s1
// GFX1250: v_rcp_bf16_e64 v5, s1                   ; encoding: [0x05,0x00,0xf9,0xd5,0x01,0x00,0x01,0x02]

v_rcp_bf16_e64 v5, s105
// GFX1250: v_rcp_bf16_e64 v5, s105                 ; encoding: [0x05,0x00,0xf9,0xd5,0x69,0x00,0x01,0x02]

v_rcp_bf16_e64 v5, vcc_lo
// GFX1250: v_rcp_bf16_e64 v5, vcc_lo               ; encoding: [0x05,0x00,0xf9,0xd5,0x6a,0x00,0x01,0x02]

v_rcp_bf16_e64 v5, vcc_hi
// GFX1250: v_rcp_bf16_e64 v5, vcc_hi               ; encoding: [0x05,0x00,0xf9,0xd5,0x6b,0x00,0x01,0x02]

v_rcp_bf16_e64 v5, ttmp15
// GFX1250: v_rcp_bf16_e64 v5, ttmp15               ; encoding: [0x05,0x00,0xf9,0xd5,0x7b,0x00,0x01,0x02]

v_rcp_bf16_e64 v5, m0
// GFX1250: v_rcp_bf16_e64 v5, m0                   ; encoding: [0x05,0x00,0xf9,0xd5,0x7d,0x00,0x01,0x02]

v_rcp_bf16_e64 v5, exec_lo
// GFX1250: v_rcp_bf16_e64 v5, exec_lo              ; encoding: [0x05,0x00,0xf9,0xd5,0x7e,0x00,0x01,0x02]

v_rcp_bf16_e64 v5, exec_hi
// GFX1250: v_rcp_bf16_e64 v5, exec_hi              ; encoding: [0x05,0x00,0xf9,0xd5,0x7f,0x00,0x01,0x02]

v_rcp_bf16_e64 v5, null
// GFX1250: v_rcp_bf16_e64 v5, null                 ; encoding: [0x05,0x00,0xf9,0xd5,0x7c,0x00,0x01,0x02]

v_rcp_bf16_e64 v5, -1
// GFX1250: v_rcp_bf16_e64 v5, -1                   ; encoding: [0x05,0x00,0xf9,0xd5,0xc1,0x00,0x01,0x02]

v_sqrt_bf16_e64 v5, v1
// GFX1250: v_sqrt_bf16_e64 v5, v1                  ; encoding: [0x05,0x00,0xfa,0xd5,0x01,0x01,0x01,0x02]

v_sqrt_bf16_e64 v5, v255
// GFX1250: v_sqrt_bf16_e64 v5, v255                ; encoding: [0x05,0x00,0xfa,0xd5,0xff,0x01,0x01,0x02]

v_sqrt_bf16_e64 v5, s1
// GFX1250: v_sqrt_bf16_e64 v5, s1                  ; encoding: [0x05,0x00,0xfa,0xd5,0x01,0x00,0x01,0x02]

v_sqrt_bf16_e64 v5, s105
// GFX1250: v_sqrt_bf16_e64 v5, s105                ; encoding: [0x05,0x00,0xfa,0xd5,0x69,0x00,0x01,0x02]

v_sqrt_bf16_e64 v5, vcc_lo
// GFX1250: v_sqrt_bf16_e64 v5, vcc_lo              ; encoding: [0x05,0x00,0xfa,0xd5,0x6a,0x00,0x01,0x02]

v_sqrt_bf16_e64 v5, vcc_hi
// GFX1250: v_sqrt_bf16_e64 v5, vcc_hi              ; encoding: [0x05,0x00,0xfa,0xd5,0x6b,0x00,0x01,0x02]

v_sqrt_bf16_e64 v5, ttmp15
// GFX1250: v_sqrt_bf16_e64 v5, ttmp15              ; encoding: [0x05,0x00,0xfa,0xd5,0x7b,0x00,0x01,0x02]

v_sqrt_bf16_e64 v5, m0
// GFX1250: v_sqrt_bf16_e64 v5, m0                  ; encoding: [0x05,0x00,0xfa,0xd5,0x7d,0x00,0x01,0x02]

v_sqrt_bf16_e64 v5, exec_lo
// GFX1250: v_sqrt_bf16_e64 v5, exec_lo             ; encoding: [0x05,0x00,0xfa,0xd5,0x7e,0x00,0x01,0x02]

v_sqrt_bf16_e64 v5, exec_hi
// GFX1250: v_sqrt_bf16_e64 v5, exec_hi             ; encoding: [0x05,0x00,0xfa,0xd5,0x7f,0x00,0x01,0x02]

v_sqrt_bf16_e64 v5, null
// GFX1250: v_sqrt_bf16_e64 v5, null                ; encoding: [0x05,0x00,0xfa,0xd5,0x7c,0x00,0x01,0x02]

v_sqrt_bf16_e64 v5, -1
// GFX1250: v_sqrt_bf16_e64 v5, -1                  ; encoding: [0x05,0x00,0xfa,0xd5,0xc1,0x00,0x01,0x02]

v_rsq_bf16_e64 v5, v1
// GFX1250: v_rsq_bf16_e64 v5, v1                   ; encoding: [0x05,0x00,0xfb,0xd5,0x01,0x01,0x01,0x02]

v_rsq_bf16_e64 v5, v255
// GFX1250: v_rsq_bf16_e64 v5, v255                 ; encoding: [0x05,0x00,0xfb,0xd5,0xff,0x01,0x01,0x02]

v_rsq_bf16_e64 v5, s1
// GFX1250: v_rsq_bf16_e64 v5, s1                   ; encoding: [0x05,0x00,0xfb,0xd5,0x01,0x00,0x01,0x02]

v_rsq_bf16_e64 v5, s105
// GFX1250: v_rsq_bf16_e64 v5, s105                 ; encoding: [0x05,0x00,0xfb,0xd5,0x69,0x00,0x01,0x02]

v_rsq_bf16_e64 v5, vcc_lo
// GFX1250: v_rsq_bf16_e64 v5, vcc_lo               ; encoding: [0x05,0x00,0xfb,0xd5,0x6a,0x00,0x01,0x02]

v_rsq_bf16_e64 v5, vcc_hi
// GFX1250: v_rsq_bf16_e64 v5, vcc_hi               ; encoding: [0x05,0x00,0xfb,0xd5,0x6b,0x00,0x01,0x02]

v_rsq_bf16_e64 v5, ttmp15
// GFX1250: v_rsq_bf16_e64 v5, ttmp15               ; encoding: [0x05,0x00,0xfb,0xd5,0x7b,0x00,0x01,0x02]

v_rsq_bf16_e64 v5, m0
// GFX1250: v_rsq_bf16_e64 v5, m0                   ; encoding: [0x05,0x00,0xfb,0xd5,0x7d,0x00,0x01,0x02]

v_rsq_bf16_e64 v5, exec_lo
// GFX1250: v_rsq_bf16_e64 v5, exec_lo              ; encoding: [0x05,0x00,0xfb,0xd5,0x7e,0x00,0x01,0x02]

v_rsq_bf16_e64 v5, exec_hi
// GFX1250: v_rsq_bf16_e64 v5, exec_hi              ; encoding: [0x05,0x00,0xfb,0xd5,0x7f,0x00,0x01,0x02]

v_rsq_bf16_e64 v5, null
// GFX1250: v_rsq_bf16_e64 v5, null                 ; encoding: [0x05,0x00,0xfb,0xd5,0x7c,0x00,0x01,0x02]

v_rsq_bf16_e64 v5, -1
// GFX1250: v_rsq_bf16_e64 v5, -1                   ; encoding: [0x05,0x00,0xfb,0xd5,0xc1,0x00,0x01,0x02]

v_log_bf16_e64 v5, v1
// GFX1250: v_log_bf16_e64 v5, v1                   ; encoding: [0x05,0x00,0xfc,0xd5,0x01,0x01,0x01,0x02]

v_log_bf16_e64 v5, v255
// GFX1250: v_log_bf16_e64 v5, v255                 ; encoding: [0x05,0x00,0xfc,0xd5,0xff,0x01,0x01,0x02]

v_log_bf16_e64 v5, s1
// GFX1250: v_log_bf16_e64 v5, s1                   ; encoding: [0x05,0x00,0xfc,0xd5,0x01,0x00,0x01,0x02]

v_log_bf16_e64 v5, s105
// GFX1250: v_log_bf16_e64 v5, s105                 ; encoding: [0x05,0x00,0xfc,0xd5,0x69,0x00,0x01,0x02]

v_log_bf16_e64 v5, vcc_lo
// GFX1250: v_log_bf16_e64 v5, vcc_lo               ; encoding: [0x05,0x00,0xfc,0xd5,0x6a,0x00,0x01,0x02]

v_log_bf16_e64 v5, vcc_hi
// GFX1250: v_log_bf16_e64 v5, vcc_hi               ; encoding: [0x05,0x00,0xfc,0xd5,0x6b,0x00,0x01,0x02]

v_log_bf16_e64 v5, ttmp15
// GFX1250: v_log_bf16_e64 v5, ttmp15               ; encoding: [0x05,0x00,0xfc,0xd5,0x7b,0x00,0x01,0x02]

v_log_bf16_e64 v5, m0
// GFX1250: v_log_bf16_e64 v5, m0                   ; encoding: [0x05,0x00,0xfc,0xd5,0x7d,0x00,0x01,0x02]

v_log_bf16_e64 v5, exec_lo
// GFX1250: v_log_bf16_e64 v5, exec_lo              ; encoding: [0x05,0x00,0xfc,0xd5,0x7e,0x00,0x01,0x02]

v_log_bf16_e64 v5, exec_hi
// GFX1250: v_log_bf16_e64 v5, exec_hi              ; encoding: [0x05,0x00,0xfc,0xd5,0x7f,0x00,0x01,0x02]

v_log_bf16_e64 v5, null
// GFX1250: v_log_bf16_e64 v5, null                 ; encoding: [0x05,0x00,0xfc,0xd5,0x7c,0x00,0x01,0x02]

v_log_bf16_e64 v5, -1
// GFX1250: v_log_bf16_e64 v5, -1                   ; encoding: [0x05,0x00,0xfc,0xd5,0xc1,0x00,0x01,0x02]

v_exp_bf16_e64 v5, v1
// GFX1250: v_exp_bf16_e64 v5, v1                   ; encoding: [0x05,0x00,0xfd,0xd5,0x01,0x01,0x01,0x02]

v_exp_bf16_e64 v5, v255
// GFX1250: v_exp_bf16_e64 v5, v255                 ; encoding: [0x05,0x00,0xfd,0xd5,0xff,0x01,0x01,0x02]

v_exp_bf16_e64 v5, s1
// GFX1250: v_exp_bf16_e64 v5, s1                   ; encoding: [0x05,0x00,0xfd,0xd5,0x01,0x00,0x01,0x02]

v_exp_bf16_e64 v5, s105
// GFX1250: v_exp_bf16_e64 v5, s105                 ; encoding: [0x05,0x00,0xfd,0xd5,0x69,0x00,0x01,0x02]

v_exp_bf16_e64 v5, vcc_lo
// GFX1250: v_exp_bf16_e64 v5, vcc_lo               ; encoding: [0x05,0x00,0xfd,0xd5,0x6a,0x00,0x01,0x02]

v_exp_bf16_e64 v5, vcc_hi
// GFX1250: v_exp_bf16_e64 v5, vcc_hi               ; encoding: [0x05,0x00,0xfd,0xd5,0x6b,0x00,0x01,0x02]

v_exp_bf16_e64 v5, ttmp15
// GFX1250: v_exp_bf16_e64 v5, ttmp15               ; encoding: [0x05,0x00,0xfd,0xd5,0x7b,0x00,0x01,0x02]

v_exp_bf16_e64 v5, m0
// GFX1250: v_exp_bf16_e64 v5, m0                   ; encoding: [0x05,0x00,0xfd,0xd5,0x7d,0x00,0x01,0x02]

v_exp_bf16_e64 v5, exec_lo
// GFX1250: v_exp_bf16_e64 v5, exec_lo              ; encoding: [0x05,0x00,0xfd,0xd5,0x7e,0x00,0x01,0x02]

v_exp_bf16_e64 v5, exec_hi
// GFX1250: v_exp_bf16_e64 v5, exec_hi              ; encoding: [0x05,0x00,0xfd,0xd5,0x7f,0x00,0x01,0x02]

v_exp_bf16_e64 v5, null
// GFX1250: v_exp_bf16_e64 v5, null                 ; encoding: [0x05,0x00,0xfd,0xd5,0x7c,0x00,0x01,0x02]

v_exp_bf16_e64 v5, -1
// GFX1250: v_exp_bf16_e64 v5, -1                   ; encoding: [0x05,0x00,0xfd,0xd5,0xc1,0x00,0x01,0x02]

v_sin_bf16_e64 v5, v1
// GFX1250: v_sin_bf16_e64 v5, v1                   ; encoding: [0x05,0x00,0xfe,0xd5,0x01,0x01,0x01,0x02]

v_sin_bf16_e64 v5, v255
// GFX1250: v_sin_bf16_e64 v5, v255                 ; encoding: [0x05,0x00,0xfe,0xd5,0xff,0x01,0x01,0x02]

v_sin_bf16_e64 v5, s1
// GFX1250: v_sin_bf16_e64 v5, s1                   ; encoding: [0x05,0x00,0xfe,0xd5,0x01,0x00,0x01,0x02]

v_sin_bf16_e64 v5, s105
// GFX1250: v_sin_bf16_e64 v5, s105                 ; encoding: [0x05,0x00,0xfe,0xd5,0x69,0x00,0x01,0x02]

v_sin_bf16_e64 v5, vcc_lo
// GFX1250: v_sin_bf16_e64 v5, vcc_lo               ; encoding: [0x05,0x00,0xfe,0xd5,0x6a,0x00,0x01,0x02]

v_sin_bf16_e64 v5, vcc_hi
// GFX1250: v_sin_bf16_e64 v5, vcc_hi               ; encoding: [0x05,0x00,0xfe,0xd5,0x6b,0x00,0x01,0x02]

v_sin_bf16_e64 v5, ttmp15
// GFX1250: v_sin_bf16_e64 v5, ttmp15               ; encoding: [0x05,0x00,0xfe,0xd5,0x7b,0x00,0x01,0x02]

v_sin_bf16_e64 v5, m0
// GFX1250: v_sin_bf16_e64 v5, m0                   ; encoding: [0x05,0x00,0xfe,0xd5,0x7d,0x00,0x01,0x02]

v_sin_bf16_e64 v5, exec_lo
// GFX1250: v_sin_bf16_e64 v5, exec_lo              ; encoding: [0x05,0x00,0xfe,0xd5,0x7e,0x00,0x01,0x02]

v_sin_bf16_e64 v5, exec_hi
// GFX1250: v_sin_bf16_e64 v5, exec_hi              ; encoding: [0x05,0x00,0xfe,0xd5,0x7f,0x00,0x01,0x02]

v_sin_bf16_e64 v5, null
// GFX1250: v_sin_bf16_e64 v5, null                 ; encoding: [0x05,0x00,0xfe,0xd5,0x7c,0x00,0x01,0x02]

v_sin_bf16_e64 v5, -1
// GFX1250: v_sin_bf16_e64 v5, -1                   ; encoding: [0x05,0x00,0xfe,0xd5,0xc1,0x00,0x01,0x02]

v_cos_bf16_e64 v5, v1
// GFX1250: v_cos_bf16_e64 v5, v1                   ; encoding: [0x05,0x00,0xff,0xd5,0x01,0x01,0x01,0x02]

v_cos_bf16_e64 v5, v255
// GFX1250: v_cos_bf16_e64 v5, v255                 ; encoding: [0x05,0x00,0xff,0xd5,0xff,0x01,0x01,0x02]

v_cos_bf16_e64 v5, s1
// GFX1250: v_cos_bf16_e64 v5, s1                   ; encoding: [0x05,0x00,0xff,0xd5,0x01,0x00,0x01,0x02]

v_cos_bf16_e64 v5, s105
// GFX1250: v_cos_bf16_e64 v5, s105                 ; encoding: [0x05,0x00,0xff,0xd5,0x69,0x00,0x01,0x02]

v_cos_bf16_e64 v5, vcc_lo
// GFX1250: v_cos_bf16_e64 v5, vcc_lo               ; encoding: [0x05,0x00,0xff,0xd5,0x6a,0x00,0x01,0x02]

v_cos_bf16_e64 v5, vcc_hi
// GFX1250: v_cos_bf16_e64 v5, vcc_hi               ; encoding: [0x05,0x00,0xff,0xd5,0x6b,0x00,0x01,0x02]

v_cos_bf16_e64 v5, ttmp15
// GFX1250: v_cos_bf16_e64 v5, ttmp15               ; encoding: [0x05,0x00,0xff,0xd5,0x7b,0x00,0x01,0x02]

v_cos_bf16_e64 v5, m0
// GFX1250: v_cos_bf16_e64 v5, m0                   ; encoding: [0x05,0x00,0xff,0xd5,0x7d,0x00,0x01,0x02]

v_cos_bf16_e64 v5, exec_lo
// GFX1250: v_cos_bf16_e64 v5, exec_lo              ; encoding: [0x05,0x00,0xff,0xd5,0x7e,0x00,0x01,0x02]

v_cos_bf16_e64 v5, exec_hi
// GFX1250: v_cos_bf16_e64 v5, exec_hi              ; encoding: [0x05,0x00,0xff,0xd5,0x7f,0x00,0x01,0x02]

v_cos_bf16_e64 v5, null
// GFX1250: v_cos_bf16_e64 v5, null                 ; encoding: [0x05,0x00,0xff,0xd5,0x7c,0x00,0x01,0x02]

v_cos_bf16_e64 v5, -1
// GFX1250: v_cos_bf16_e64 v5, -1                   ; encoding: [0x05,0x00,0xff,0xd5,0xc1,0x00,0x01,0x02]

v_cvt_f32_bf16_e64 v5, v1
// GFX1250: v_cvt_f32_bf16_e64 v5, v1               ; encoding: [0x05,0x00,0xf2,0xd5,0x01,0x01,0x01,0x02]

v_cvt_f32_bf16_e64 v5, v255
// GFX1250: v_cvt_f32_bf16_e64 v5, v255             ; encoding: [0x05,0x00,0xf2,0xd5,0xff,0x01,0x01,0x02]

v_cvt_f32_bf16_e64 v5, s1
// GFX1250: v_cvt_f32_bf16_e64 v5, s1               ; encoding: [0x05,0x00,0xf2,0xd5,0x01,0x00,0x01,0x02]

v_cvt_f32_bf16_e64 v5, s105
// GFX1250: v_cvt_f32_bf16_e64 v5, s105             ; encoding: [0x05,0x00,0xf2,0xd5,0x69,0x00,0x01,0x02]

v_cvt_f32_bf16_e64 v5, vcc_lo
// GFX1250: v_cvt_f32_bf16_e64 v5, vcc_lo           ; encoding: [0x05,0x00,0xf2,0xd5,0x6a,0x00,0x01,0x02]

v_cvt_f32_bf16_e64 v5, vcc_hi
// GFX1250: v_cvt_f32_bf16_e64 v5, vcc_hi           ; encoding: [0x05,0x00,0xf2,0xd5,0x6b,0x00,0x01,0x02]

v_cvt_f32_bf16_e64 v5, ttmp15
// GFX1250: v_cvt_f32_bf16_e64 v5, ttmp15           ; encoding: [0x05,0x00,0xf2,0xd5,0x7b,0x00,0x01,0x02]

v_cvt_f32_bf16_e64 v5, m0
// GFX1250: v_cvt_f32_bf16_e64 v5, m0               ; encoding: [0x05,0x00,0xf2,0xd5,0x7d,0x00,0x01,0x02]

v_cvt_f32_bf16_e64 v5, exec_lo
// GFX1250: v_cvt_f32_bf16_e64 v5, exec_lo          ; encoding: [0x05,0x00,0xf2,0xd5,0x7e,0x00,0x01,0x02]

v_cvt_f32_bf16_e64 v5, exec_hi
// GFX1250: v_cvt_f32_bf16_e64 v5, exec_hi          ; encoding: [0x05,0x00,0xf2,0xd5,0x7f,0x00,0x01,0x02]

v_cvt_f32_bf16_e64 v5, null
// GFX1250: v_cvt_f32_bf16_e64 v5, null             ; encoding: [0x05,0x00,0xf2,0xd5,0x7c,0x00,0x01,0x02]

v_cvt_f32_bf16_e64 v5, -1
// GFX1250: v_cvt_f32_bf16_e64 v5, -1               ; encoding: [0x05,0x00,0xf2,0xd5,0xc1,0x00,0x01,0x02]

v_cvt_f32_bf16_e64 v5, v1 op_sel:[1]
// GFX1250: v_cvt_f32_bf16_e64 v5, v1 op_sel:[1,0]  ; encoding: [0x05,0x08,0xf2,0xd5,0x01,0x01,0x01,0x02]

v_cvt_f32_bf16_e64 v5, v255 op_sel:[1]
// GFX1250: v_cvt_f32_bf16_e64 v5, v255 op_sel:[1,0] ; encoding: [0x05,0x08,0xf2,0xd5,0xff,0x01,0x01,0x02]

v_cvt_f32_bf16_e64 v5, s1 op_sel:[1]
// GFX1250: v_cvt_f32_bf16_e64 v5, s1 op_sel:[1,0]  ; encoding: [0x05,0x08,0xf2,0xd5,0x01,0x00,0x01,0x02]

v_cvt_f32_bf16_e64 v5, s105 op_sel:[1]
// GFX1250: v_cvt_f32_bf16_e64 v5, s105 op_sel:[1,0] ; encoding: [0x05,0x08,0xf2,0xd5,0x69,0x00,0x01,0x02]

v_cvt_f32_bf16_e64 v5, vcc_lo op_sel:[1]
// GFX1250: v_cvt_f32_bf16_e64 v5, vcc_lo op_sel:[1,0] ; encoding: [0x05,0x08,0xf2,0xd5,0x6a,0x00,0x01,0x02]

v_cvt_f32_bf16_e64 v5, vcc_hi op_sel:[1]
// GFX1250: v_cvt_f32_bf16_e64 v5, vcc_hi op_sel:[1,0] ; encoding: [0x05,0x08,0xf2,0xd5,0x6b,0x00,0x01,0x02]

v_cvt_f32_bf16_e64 v5, ttmp15 op_sel:[1]
// GFX1250: v_cvt_f32_bf16_e64 v5, ttmp15 op_sel:[1,0] ; encoding: [0x05,0x08,0xf2,0xd5,0x7b,0x00,0x01,0x02]

v_cvt_f32_bf16_e64 v5, m0 op_sel:[1]
// GFX1250: v_cvt_f32_bf16_e64 v5, m0 op_sel:[1,0]  ; encoding: [0x05,0x08,0xf2,0xd5,0x7d,0x00,0x01,0x02]

v_cvt_f32_bf16_e64 v5, exec_lo op_sel:[1]
// GFX1250: v_cvt_f32_bf16_e64 v5, exec_lo op_sel:[1,0] ; encoding: [0x05,0x08,0xf2,0xd5,0x7e,0x00,0x01,0x02]

v_cvt_f32_bf16_e64 v5, exec_hi op_sel:[1]
// GFX1250: v_cvt_f32_bf16_e64 v5, exec_hi op_sel:[1,0] ; encoding: [0x05,0x08,0xf2,0xd5,0x7f,0x00,0x01,0x02]

v_cvt_f32_bf16_e64 v5, null op_sel:[1]
// GFX1250: v_cvt_f32_bf16_e64 v5, null op_sel:[1,0] ; encoding: [0x05,0x08,0xf2,0xd5,0x7c,0x00,0x01,0x02]

v_cvt_f32_bf16_e64 v5, -1 op_sel:[1]
// GFX1250: v_cvt_f32_bf16_e64 v5, -1 op_sel:[1,0]  ; encoding: [0x05,0x08,0xf2,0xd5,0xc1,0x00,0x01,0x02]

v_cvt_f32_bf16_e64 v5, src_scc op_sel:[1]
// GFX1250: v_cvt_f32_bf16_e64 v5, src_scc op_sel:[1,0] ; encoding: [0x05,0x08,0xf2,0xd5,0xfd,0x00,0x01,0x02]

v_cvt_f16_bf8 v150, v2
// GFX1250: v_cvt_f16_bf8_e64 v150, v2              ; encoding: [0x96,0x00,0xf8,0xd5,0x02,0x01,0x01,0x02]

v_cvt_f16_bf8 v150, s2
// GFX1250: v_cvt_f16_bf8_e64 v150, s2              ; encoding: [0x96,0x00,0xf8,0xd5,0x02,0x00,0x01,0x02]

v_cvt_f16_bf8 v150, 2
// GFX1250: v_cvt_f16_bf8_e64 v150, 2               ; encoding: [0x96,0x00,0xf8,0xd5,0x82,0x00,0x01,0x02]

v_cvt_f16_bf8 v150, 0x1234
// GFX1250: v_cvt_f16_bf8_e64 v150, 0x1234          ; encoding: [0x96,0x00,0xf8,0xd5,0xff,0x00,0x01,0x02,0x34,0x12,0x00,0x00]

v_cvt_f16_bf8 v1, v2 byte_sel:2
// GFX1250: v_cvt_f16_bf8_e64 v1, v2 byte_sel:2     ; encoding: [0x01,0x08,0xf8,0xd5,0x02,0x01,0x01,0x02]

v_cvt_f16_bf8 v1, v2 byte_sel:1
// GFX1250: v_cvt_f16_bf8_e64 v1, v2 byte_sel:1     ; encoding: [0x01,0x10,0xf8,0xd5,0x02,0x01,0x01,0x02]
	;; [unrolled: 3-line block ×3, first 2 shown]

v_cvt_f16_bf8 v128, v2 op_sel:[0,1]
// GFX1250: v_cvt_f16_bf8_e64 v128, v2 op_sel:[0,1] ; encoding: [0x80,0x40,0xf8,0xd5,0x02,0x01,0x01,0x02]

v_cvt_f16_bf8 v1, v2 op_sel:[0,1] byte_sel:2
// GFX1250: v_cvt_f16_bf8_e64 v1, v2 op_sel:[0,1] byte_sel:2 ; encoding: [0x01,0x48,0xf8,0xd5,0x02,0x01,0x01,0x02]

v_cvt_f16_fp8 v150, v2
// GFX1250: v_cvt_f16_fp8_e64 v150, v2              ; encoding: [0x96,0x00,0xf7,0xd5,0x02,0x01,0x01,0x02]

v_cvt_f16_fp8 v150, s2
// GFX1250: v_cvt_f16_fp8_e64 v150, s2              ; encoding: [0x96,0x00,0xf7,0xd5,0x02,0x00,0x01,0x02]

v_cvt_f16_fp8 v150, 2
// GFX1250: v_cvt_f16_fp8_e64 v150, 2               ; encoding: [0x96,0x00,0xf7,0xd5,0x82,0x00,0x01,0x02]

v_cvt_f16_fp8 v150, 0x1234
// GFX1250: v_cvt_f16_fp8_e64 v150, 0x1234          ; encoding: [0x96,0x00,0xf7,0xd5,0xff,0x00,0x01,0x02,0x34,0x12,0x00,0x00]

v_cvt_f16_fp8 v1, v2 byte_sel:2
// GFX1250: v_cvt_f16_fp8_e64 v1, v2 byte_sel:2     ; encoding: [0x01,0x08,0xf7,0xd5,0x02,0x01,0x01,0x02]

v_cvt_f16_fp8 v1, v2 byte_sel:1
// GFX1250: v_cvt_f16_fp8_e64 v1, v2 byte_sel:1     ; encoding: [0x01,0x10,0xf7,0xd5,0x02,0x01,0x01,0x02]
	;; [unrolled: 3-line block ×3, first 2 shown]

v_cvt_f16_fp8 v128, v2 op_sel:[0,1]
// GFX1250: v_cvt_f16_fp8_e64 v128, v2 op_sel:[0,1] ; encoding: [0x80,0x40,0xf7,0xd5,0x02,0x01,0x01,0x02]

v_cvt_f16_fp8 v1, v2 op_sel:[0,1] byte_sel:2
// GFX1250: v_cvt_f16_fp8_e64 v1, v2 op_sel:[0,1] byte_sel:2 ; encoding: [0x01,0x48,0xf7,0xd5,0x02,0x01,0x01,0x02]

v_cvt_pk_f16_bf8 v1, v150
// GFX1250: v_cvt_pk_f16_bf8 v1, v150               ; encoding: [0x01,0x00,0xf6,0xd5,0x96,0x01,0x01,0x02]

v_cvt_pk_f16_bf8 v1, v2 op_sel:[1]
// GFX1250: v_cvt_pk_f16_bf8 v1, v2 op_sel:[1,0]    ; encoding: [0x01,0x08,0xf6,0xd5,0x02,0x01,0x01,0x02]

v_cvt_pk_f16_bf8 v1, v150 op_sel:[1]
// GFX1250: v_cvt_pk_f16_bf8 v1, v150 op_sel:[1,0]  ; encoding: [0x01,0x08,0xf6,0xd5,0x96,0x01,0x01,0x02]

v_cvt_pk_f16_bf8 v1, s2 op_sel:[1]
// GFX1250: v_cvt_pk_f16_bf8 v1, s2 op_sel:[1,0]    ; encoding: [0x01,0x08,0xf6,0xd5,0x02,0x00,0x01,0x02]

v_cvt_pk_f16_fp8 v1, v150
// GFX1250: v_cvt_pk_f16_fp8 v1, v150               ; encoding: [0x01,0x00,0xf5,0xd5,0x96,0x01,0x01,0x02]

v_cvt_pk_f16_fp8 v1, v2 op_sel:[1]
// GFX1250: v_cvt_pk_f16_fp8 v1, v2 op_sel:[1,0]    ; encoding: [0x01,0x08,0xf5,0xd5,0x02,0x01,0x01,0x02]

v_cvt_pk_f16_fp8 v1, v150 op_sel:[1]
// GFX1250: v_cvt_pk_f16_fp8 v1, v150 op_sel:[1,0]  ; encoding: [0x01,0x08,0xf5,0xd5,0x96,0x01,0x01,0x02]

v_cvt_pk_f16_fp8 v1, s2 op_sel:[1]
// GFX1250: v_cvt_pk_f16_fp8 v1, s2 op_sel:[1,0]    ; encoding: [0x01,0x08,0xf5,0xd5,0x02,0x00,0x01,0x02]

v_sat_pk4_i4_i8 v150, v2
// GFX1250: v_sat_pk4_i4_i8_e64 v150, v2            ; encoding: [0x96,0x00,0xf3,0xd5,0x02,0x01,0x01,0x02]

v_sat_pk4_i4_i8 v150, s2
// GFX1250: v_sat_pk4_i4_i8_e64 v150, s2            ; encoding: [0x96,0x00,0xf3,0xd5,0x02,0x00,0x01,0x02]

v_sat_pk4_i4_i8 v150, 2
// GFX1250: v_sat_pk4_i4_i8_e64 v150, 2             ; encoding: [0x96,0x00,0xf3,0xd5,0x82,0x00,0x01,0x02]

v_sat_pk4_i4_i8 v150, 0x1234
// GFX1250: v_sat_pk4_i4_i8_e64 v150, 0x1234        ; encoding: [0x96,0x00,0xf3,0xd5,0xff,0x00,0x01,0x02,0x34,0x12,0x00,0x00]

v_sat_pk4_u4_u8 v150, v2
// GFX1250: v_sat_pk4_u4_u8_e64 v150, v2            ; encoding: [0x96,0x00,0xf4,0xd5,0x02,0x01,0x01,0x02]

v_sat_pk4_u4_u8 v150, s2
// GFX1250: v_sat_pk4_u4_u8_e64 v150, s2            ; encoding: [0x96,0x00,0xf4,0xd5,0x02,0x00,0x01,0x02]

v_sat_pk4_u4_u8 v150, 2
// GFX1250: v_sat_pk4_u4_u8_e64 v150, 2             ; encoding: [0x96,0x00,0xf4,0xd5,0x82,0x00,0x01,0x02]

v_sat_pk4_u4_u8 v150, 0x1234
// GFX1250: v_sat_pk4_u4_u8_e64 v150, 0x1234        ; encoding: [0x96,0x00,0xf4,0xd5,0xff,0x00,0x01,0x02,0x34,0x12,0x00,0x00]

v_permlane16_swap_b32_e64 v1, v2
// GFX1250: v_permlane16_swap_b32_e64 v1, v2        ; encoding: [0x01,0x00,0xc9,0xd5,0x02,0x01,0x01,0x02]

v_permlane16_swap_b32 v1, v2 bound_ctrl:0
// GFX1250: v_permlane16_swap_b32_e64 v1, v2        ; encoding: [0x01,0x00,0xc9,0xd5,0x02,0x01,0x01,0x02]

v_permlane16_swap_b32 v1, v2 fi:0
// GFX1250: v_permlane16_swap_b32_e64 v1, v2        ; encoding: [0x01,0x00,0xc9,0xd5,0x02,0x01,0x01,0x02]

v_permlane16_swap_b32 v1, v2 bound_ctrl:1
// GFX1250: v_permlane16_swap_b32_e64 v1, v2 bound_ctrl:1 ; encoding: [0x01,0x10,0xc9,0xd5,0x02,0x01,0x01,0x02]

v_permlane16_swap_b32 v1, v2 fi:1
// GFX1250: v_permlane16_swap_b32_e64 v1, v2 fi:1   ; encoding: [0x01,0x08,0xc9,0xd5,0x02,0x01,0x01,0x02]

v_permlane16_swap_b32 v1, v2 bound_ctrl:1 fi:1
// GFX1250: v_permlane16_swap_b32_e64 v1, v2 bound_ctrl:1 fi:1 ; encoding: [0x01,0x18,0xc9,0xd5,0x02,0x01,0x01,0x02]

v_permlane16_swap_b32_e64 v1, v2 bound_ctrl:1 fi:1
// GFX1250: v_permlane16_swap_b32_e64 v1, v2 bound_ctrl:1 fi:1 ; encoding: [0x01,0x18,0xc9,0xd5,0x02,0x01,0x01,0x02]
